;; amdgpu-corpus repo=ROCm/rocFFT kind=compiled arch=gfx906 opt=O3
	.text
	.amdgcn_target "amdgcn-amd-amdhsa--gfx906"
	.amdhsa_code_object_version 6
	.protected	fft_rtc_back_len3645_factors_5_3_3_3_3_3_3_wgs_243_tpt_243_halfLds_dp_op_CI_CI_unitstride_sbrr_dirReg ; -- Begin function fft_rtc_back_len3645_factors_5_3_3_3_3_3_3_wgs_243_tpt_243_halfLds_dp_op_CI_CI_unitstride_sbrr_dirReg
	.globl	fft_rtc_back_len3645_factors_5_3_3_3_3_3_3_wgs_243_tpt_243_halfLds_dp_op_CI_CI_unitstride_sbrr_dirReg
	.p2align	8
	.type	fft_rtc_back_len3645_factors_5_3_3_3_3_3_3_wgs_243_tpt_243_halfLds_dp_op_CI_CI_unitstride_sbrr_dirReg,@function
fft_rtc_back_len3645_factors_5_3_3_3_3_3_3_wgs_243_tpt_243_halfLds_dp_op_CI_CI_unitstride_sbrr_dirReg: ; @fft_rtc_back_len3645_factors_5_3_3_3_3_3_3_wgs_243_tpt_243_halfLds_dp_op_CI_CI_unitstride_sbrr_dirReg
; %bb.0:
	s_load_dwordx4 s[8:11], s[4:5], 0x58
	s_load_dwordx4 s[12:15], s[4:5], 0x0
	;; [unrolled: 1-line block ×3, first 2 shown]
	v_mul_u32_u24_e32 v1, 0x10e, v0
	v_add_u32_sdwa v6, s6, v1 dst_sel:DWORD dst_unused:UNUSED_PAD src0_sel:DWORD src1_sel:WORD_1
	v_mov_b32_e32 v1, 0
	s_waitcnt lgkmcnt(0)
	v_cmp_lt_u64_e64 s[0:1], s[14:15], 2
	v_mov_b32_e32 v4, 0
	v_mov_b32_e32 v7, v1
	s_and_b64 vcc, exec, s[0:1]
	v_mov_b32_e32 v5, 0
	s_cbranch_vccnz .LBB0_8
; %bb.1:
	s_load_dwordx2 s[0:1], s[4:5], 0x10
	s_add_u32 s2, s18, 8
	s_addc_u32 s3, s19, 0
	s_add_u32 s6, s16, 8
	v_mov_b32_e32 v4, 0
	s_addc_u32 s7, s17, 0
	v_mov_b32_e32 v5, 0
	s_waitcnt lgkmcnt(0)
	s_add_u32 s20, s0, 8
	v_mov_b32_e32 v61, v5
	s_addc_u32 s21, s1, 0
	s_mov_b64 s[22:23], 1
	v_mov_b32_e32 v60, v4
.LBB0_2:                                ; =>This Inner Loop Header: Depth=1
	s_load_dwordx2 s[24:25], s[20:21], 0x0
                                        ; implicit-def: $vgpr62_vgpr63
	s_waitcnt lgkmcnt(0)
	v_or_b32_e32 v2, s25, v7
	v_cmp_ne_u64_e32 vcc, 0, v[1:2]
	s_and_saveexec_b64 s[0:1], vcc
	s_xor_b64 s[26:27], exec, s[0:1]
	s_cbranch_execz .LBB0_4
; %bb.3:                                ;   in Loop: Header=BB0_2 Depth=1
	v_cvt_f32_u32_e32 v2, s24
	v_cvt_f32_u32_e32 v3, s25
	s_sub_u32 s0, 0, s24
	s_subb_u32 s1, 0, s25
	v_mac_f32_e32 v2, 0x4f800000, v3
	v_rcp_f32_e32 v2, v2
	v_mul_f32_e32 v2, 0x5f7ffffc, v2
	v_mul_f32_e32 v3, 0x2f800000, v2
	v_trunc_f32_e32 v3, v3
	v_mac_f32_e32 v2, 0xcf800000, v3
	v_cvt_u32_f32_e32 v3, v3
	v_cvt_u32_f32_e32 v2, v2
	v_mul_lo_u32 v8, s0, v3
	v_mul_hi_u32 v9, s0, v2
	v_mul_lo_u32 v11, s1, v2
	v_mul_lo_u32 v10, s0, v2
	v_add_u32_e32 v8, v9, v8
	v_add_u32_e32 v8, v8, v11
	v_mul_hi_u32 v9, v2, v10
	v_mul_lo_u32 v11, v2, v8
	v_mul_hi_u32 v13, v2, v8
	v_mul_hi_u32 v12, v3, v10
	v_mul_lo_u32 v10, v3, v10
	v_mul_hi_u32 v14, v3, v8
	v_add_co_u32_e32 v9, vcc, v9, v11
	v_addc_co_u32_e32 v11, vcc, 0, v13, vcc
	v_mul_lo_u32 v8, v3, v8
	v_add_co_u32_e32 v9, vcc, v9, v10
	v_addc_co_u32_e32 v9, vcc, v11, v12, vcc
	v_addc_co_u32_e32 v10, vcc, 0, v14, vcc
	v_add_co_u32_e32 v8, vcc, v9, v8
	v_addc_co_u32_e32 v9, vcc, 0, v10, vcc
	v_add_co_u32_e32 v2, vcc, v2, v8
	v_addc_co_u32_e32 v3, vcc, v3, v9, vcc
	v_mul_lo_u32 v8, s0, v3
	v_mul_hi_u32 v9, s0, v2
	v_mul_lo_u32 v10, s1, v2
	v_mul_lo_u32 v11, s0, v2
	v_add_u32_e32 v8, v9, v8
	v_add_u32_e32 v8, v8, v10
	v_mul_lo_u32 v12, v2, v8
	v_mul_hi_u32 v13, v2, v11
	v_mul_hi_u32 v14, v2, v8
	v_mul_hi_u32 v10, v3, v11
	v_mul_lo_u32 v11, v3, v11
	v_mul_hi_u32 v9, v3, v8
	v_add_co_u32_e32 v12, vcc, v13, v12
	v_addc_co_u32_e32 v13, vcc, 0, v14, vcc
	v_mul_lo_u32 v8, v3, v8
	v_add_co_u32_e32 v11, vcc, v12, v11
	v_addc_co_u32_e32 v10, vcc, v13, v10, vcc
	v_addc_co_u32_e32 v9, vcc, 0, v9, vcc
	v_add_co_u32_e32 v8, vcc, v10, v8
	v_addc_co_u32_e32 v9, vcc, 0, v9, vcc
	v_add_co_u32_e32 v8, vcc, v2, v8
	v_addc_co_u32_e32 v9, vcc, v3, v9, vcc
	v_mad_u64_u32 v[2:3], s[0:1], v6, v9, 0
	v_mul_hi_u32 v10, v6, v8
	v_add_co_u32_e32 v10, vcc, v10, v2
	v_addc_co_u32_e32 v11, vcc, 0, v3, vcc
	v_mad_u64_u32 v[2:3], s[0:1], v7, v8, 0
	v_mad_u64_u32 v[8:9], s[0:1], v7, v9, 0
	v_add_co_u32_e32 v2, vcc, v10, v2
	v_addc_co_u32_e32 v2, vcc, v11, v3, vcc
	v_addc_co_u32_e32 v3, vcc, 0, v9, vcc
	v_add_co_u32_e32 v8, vcc, v2, v8
	v_addc_co_u32_e32 v9, vcc, 0, v3, vcc
	v_mul_lo_u32 v10, s25, v8
	v_mul_lo_u32 v11, s24, v9
	v_mad_u64_u32 v[2:3], s[0:1], s24, v8, 0
	v_add3_u32 v3, v3, v11, v10
	v_sub_u32_e32 v10, v7, v3
	v_mov_b32_e32 v11, s25
	v_sub_co_u32_e32 v2, vcc, v6, v2
	v_subb_co_u32_e64 v10, s[0:1], v10, v11, vcc
	v_subrev_co_u32_e64 v11, s[0:1], s24, v2
	v_subbrev_co_u32_e64 v10, s[0:1], 0, v10, s[0:1]
	v_cmp_le_u32_e64 s[0:1], s25, v10
	v_cndmask_b32_e64 v12, 0, -1, s[0:1]
	v_cmp_le_u32_e64 s[0:1], s24, v11
	v_cndmask_b32_e64 v11, 0, -1, s[0:1]
	v_cmp_eq_u32_e64 s[0:1], s25, v10
	v_cndmask_b32_e64 v10, v12, v11, s[0:1]
	v_add_co_u32_e64 v11, s[0:1], 2, v8
	v_addc_co_u32_e64 v12, s[0:1], 0, v9, s[0:1]
	v_add_co_u32_e64 v13, s[0:1], 1, v8
	v_addc_co_u32_e64 v14, s[0:1], 0, v9, s[0:1]
	v_subb_co_u32_e32 v3, vcc, v7, v3, vcc
	v_cmp_ne_u32_e64 s[0:1], 0, v10
	v_cmp_le_u32_e32 vcc, s25, v3
	v_cndmask_b32_e64 v10, v14, v12, s[0:1]
	v_cndmask_b32_e64 v12, 0, -1, vcc
	v_cmp_le_u32_e32 vcc, s24, v2
	v_cndmask_b32_e64 v2, 0, -1, vcc
	v_cmp_eq_u32_e32 vcc, s25, v3
	v_cndmask_b32_e32 v2, v12, v2, vcc
	v_cmp_ne_u32_e32 vcc, 0, v2
	v_cndmask_b32_e64 v2, v13, v11, s[0:1]
	v_cndmask_b32_e32 v63, v9, v10, vcc
	v_cndmask_b32_e32 v62, v8, v2, vcc
.LBB0_4:                                ;   in Loop: Header=BB0_2 Depth=1
	s_andn2_saveexec_b64 s[0:1], s[26:27]
	s_cbranch_execz .LBB0_6
; %bb.5:                                ;   in Loop: Header=BB0_2 Depth=1
	v_cvt_f32_u32_e32 v2, s24
	s_sub_i32 s26, 0, s24
	v_mov_b32_e32 v63, v1
	v_rcp_iflag_f32_e32 v2, v2
	v_mul_f32_e32 v2, 0x4f7ffffe, v2
	v_cvt_u32_f32_e32 v2, v2
	v_mul_lo_u32 v3, s26, v2
	v_mul_hi_u32 v3, v2, v3
	v_add_u32_e32 v2, v2, v3
	v_mul_hi_u32 v2, v6, v2
	v_mul_lo_u32 v3, v2, s24
	v_add_u32_e32 v8, 1, v2
	v_sub_u32_e32 v3, v6, v3
	v_subrev_u32_e32 v9, s24, v3
	v_cmp_le_u32_e32 vcc, s24, v3
	v_cndmask_b32_e32 v3, v3, v9, vcc
	v_cndmask_b32_e32 v2, v2, v8, vcc
	v_add_u32_e32 v8, 1, v2
	v_cmp_le_u32_e32 vcc, s24, v3
	v_cndmask_b32_e32 v62, v2, v8, vcc
.LBB0_6:                                ;   in Loop: Header=BB0_2 Depth=1
	s_or_b64 exec, exec, s[0:1]
	v_mul_lo_u32 v8, v63, s24
	v_mul_lo_u32 v9, v62, s25
	v_mad_u64_u32 v[2:3], s[0:1], v62, s24, 0
	s_load_dwordx2 s[0:1], s[6:7], 0x0
	s_load_dwordx2 s[24:25], s[2:3], 0x0
	v_add3_u32 v3, v3, v9, v8
	v_sub_co_u32_e32 v2, vcc, v6, v2
	v_subb_co_u32_e32 v3, vcc, v7, v3, vcc
	s_waitcnt lgkmcnt(0)
	v_mul_lo_u32 v6, s0, v3
	v_mul_lo_u32 v7, s1, v2
	v_mad_u64_u32 v[4:5], s[0:1], s0, v2, v[4:5]
	v_mul_lo_u32 v3, s24, v3
	v_mul_lo_u32 v8, s25, v2
	v_mad_u64_u32 v[60:61], s[0:1], s24, v2, v[60:61]
	s_add_u32 s22, s22, 1
	s_addc_u32 s23, s23, 0
	s_add_u32 s2, s2, 8
	v_add3_u32 v61, v8, v61, v3
	s_addc_u32 s3, s3, 0
	v_mov_b32_e32 v2, s14
	s_add_u32 s6, s6, 8
	v_mov_b32_e32 v3, s15
	s_addc_u32 s7, s7, 0
	v_cmp_ge_u64_e32 vcc, s[22:23], v[2:3]
	s_add_u32 s20, s20, 8
	v_add3_u32 v5, v7, v5, v6
	s_addc_u32 s21, s21, 0
	s_cbranch_vccnz .LBB0_9
; %bb.7:                                ;   in Loop: Header=BB0_2 Depth=1
	v_mov_b32_e32 v6, v62
	v_mov_b32_e32 v7, v63
	s_branch .LBB0_2
.LBB0_8:
	v_mov_b32_e32 v61, v5
	v_mov_b32_e32 v63, v7
	;; [unrolled: 1-line block ×4, first 2 shown]
.LBB0_9:
	s_load_dwordx2 s[4:5], s[4:5], 0x28
	s_lshl_b64 s[6:7], s[14:15], 3
	s_add_u32 s2, s18, s6
	s_addc_u32 s3, s19, s7
                                        ; implicit-def: $vgpr64
	s_waitcnt lgkmcnt(0)
	v_cmp_gt_u64_e64 s[0:1], s[4:5], v[62:63]
	v_cmp_le_u64_e32 vcc, s[4:5], v[62:63]
	s_and_saveexec_b64 s[4:5], vcc
	s_xor_b64 s[4:5], exec, s[4:5]
; %bb.10:
	s_mov_b32 s14, 0x10db20b
	v_mul_hi_u32 v1, v0, s14
                                        ; implicit-def: $vgpr4_vgpr5
	v_mul_u32_u24_e32 v1, 0xf3, v1
	v_sub_u32_e32 v64, v0, v1
                                        ; implicit-def: $vgpr0
; %bb.11:
	s_or_saveexec_b64 s[4:5], s[4:5]
                                        ; implicit-def: $vgpr2_vgpr3
                                        ; implicit-def: $vgpr6_vgpr7
                                        ; implicit-def: $vgpr10_vgpr11
                                        ; implicit-def: $vgpr14_vgpr15
                                        ; implicit-def: $vgpr18_vgpr19
                                        ; implicit-def: $vgpr30_vgpr31
                                        ; implicit-def: $vgpr34_vgpr35
                                        ; implicit-def: $vgpr38_vgpr39
                                        ; implicit-def: $vgpr42_vgpr43
                                        ; implicit-def: $vgpr46_vgpr47
                                        ; implicit-def: $vgpr50_vgpr51
                                        ; implicit-def: $vgpr54_vgpr55
                                        ; implicit-def: $vgpr22_vgpr23
                                        ; implicit-def: $vgpr26_vgpr27
                                        ; implicit-def: $vgpr58_vgpr59
	s_xor_b64 exec, exec, s[4:5]
	s_cbranch_execz .LBB0_13
; %bb.12:
	s_add_u32 s6, s16, s6
	s_addc_u32 s7, s17, s7
	s_load_dwordx2 s[6:7], s[6:7], 0x0
	s_mov_b32 s14, 0x10db20b
	v_mul_hi_u32 v3, v0, s14
	s_waitcnt lgkmcnt(0)
	v_mul_lo_u32 v6, s7, v62
	v_mul_lo_u32 v7, s6, v63
	v_mad_u64_u32 v[1:2], s[6:7], s6, v62, 0
	v_mul_u32_u24_e32 v3, 0xf3, v3
	v_sub_u32_e32 v64, v0, v3
	v_add3_u32 v2, v2, v7, v6
	v_lshlrev_b64 v[0:1], 4, v[1:2]
	v_mov_b32_e32 v2, s9
	v_add_co_u32_e32 v3, vcc, s8, v0
	v_addc_co_u32_e32 v2, vcc, v2, v1, vcc
	v_lshlrev_b64 v[0:1], 4, v[4:5]
	s_movk_i32 s6, 0x2000
	v_add_co_u32_e32 v0, vcc, v3, v0
	v_addc_co_u32_e32 v1, vcc, v2, v1, vcc
	v_lshlrev_b32_e32 v2, 4, v64
	v_add_co_u32_e32 v65, vcc, v0, v2
	v_addc_co_u32_e32 v66, vcc, 0, v1, vcc
	v_add_co_u32_e32 v0, vcc, s6, v65
	v_addc_co_u32_e32 v1, vcc, 0, v66, vcc
	s_movk_i32 s6, 0x5000
	v_add_co_u32_e32 v2, vcc, s6, v65
	v_addc_co_u32_e32 v3, vcc, 0, v66, vcc
	s_mov_b32 s6, 0x8000
	v_add_co_u32_e32 v67, vcc, s6, v65
	v_addc_co_u32_e32 v68, vcc, 0, v66, vcc
	s_mov_b32 s6, 0xb000
	v_add_co_u32_e32 v69, vcc, s6, v65
	v_addc_co_u32_e32 v70, vcc, 0, v66, vcc
	s_movk_i32 s6, 0x3000
	v_add_co_u32_e32 v71, vcc, s6, v65
	v_addc_co_u32_e32 v72, vcc, 0, v66, vcc
	s_movk_i32 s6, 0x6000
	v_add_co_u32_e32 v73, vcc, s6, v65
	v_addc_co_u32_e32 v74, vcc, 0, v66, vcc
	s_mov_b32 s6, 0x9000
	v_add_co_u32_e32 v75, vcc, s6, v65
	v_addc_co_u32_e32 v76, vcc, 0, v66, vcc
	s_mov_b32 s6, 0xc000
	v_add_co_u32_e32 v77, vcc, s6, v65
	v_addc_co_u32_e32 v78, vcc, 0, v66, vcc
	s_movk_i32 s6, 0x1000
	v_add_co_u32_e32 v79, vcc, s6, v65
	v_addc_co_u32_e32 v80, vcc, 0, v66, vcc
	s_movk_i32 s6, 0x4000
	;; [unrolled: 3-line block ×3, first 2 shown]
	v_add_co_u32_e32 v83, vcc, s6, v65
	v_addc_co_u32_e32 v84, vcc, 0, v66, vcc
	s_mov_b32 s6, 0xa000
	v_add_co_u32_e32 v85, vcc, s6, v65
	v_addc_co_u32_e32 v86, vcc, 0, v66, vcc
	v_add_co_u32_e32 v87, vcc, 0xd000, v65
	global_load_dwordx4 v[24:27], v[0:1], off offset:3472
	global_load_dwordx4 v[20:23], v[2:3], off offset:2848
	v_addc_co_u32_e32 v88, vcc, 0, v66, vcc
	global_load_dwordx4 v[52:55], v[67:68], off offset:2224
	global_load_dwordx4 v[48:51], v[69:70], off offset:1600
	global_load_dwordx4 v[56:59], v[65:66], off
	global_load_dwordx4 v[44:47], v[65:66], off offset:3888
	global_load_dwordx4 v[40:43], v[71:72], off offset:3264
	global_load_dwordx4 v[36:39], v[73:74], off offset:2640
	global_load_dwordx4 v[32:35], v[75:76], off offset:2016
	global_load_dwordx4 v[28:31], v[77:78], off offset:1392
	global_load_dwordx4 v[16:19], v[79:80], off offset:3680
	global_load_dwordx4 v[12:15], v[81:82], off offset:3056
	global_load_dwordx4 v[8:11], v[83:84], off offset:2432
	global_load_dwordx4 v[4:7], v[85:86], off offset:1808
	global_load_dwordx4 v[0:3], v[87:88], off offset:1184
.LBB0_13:
	s_or_b64 exec, exec, s[4:5]
	s_waitcnt vmcnt(10)
	v_add_f64 v[73:74], v[24:25], v[56:57]
	v_add_f64 v[65:66], v[52:53], v[20:21]
	;; [unrolled: 1-line block ×6, first 2 shown]
	s_waitcnt vmcnt(6)
	v_add_f64 v[85:86], v[32:33], v[36:37]
	v_add_f64 v[93:94], v[40:41], v[44:45]
	;; [unrolled: 1-line block ×3, first 2 shown]
	v_fma_f64 v[65:66], v[65:66], -0.5, v[56:57]
	v_fma_f64 v[56:57], v[67:68], -0.5, v[56:57]
	;; [unrolled: 1-line block ×4, first 2 shown]
	v_add_f64 v[71:72], v[24:25], -v[20:21]
	v_add_f64 v[75:76], v[22:23], v[75:76]
	v_add_f64 v[77:78], v[20:21], -v[24:25]
	v_add_f64 v[73:74], v[52:53], v[73:74]
	v_add_f64 v[24:25], v[24:25], -v[48:49]
	v_add_f64 v[20:21], v[20:21], -v[52:53]
	;; [unrolled: 1-line block ×7, first 2 shown]
	v_add_f64 v[48:49], v[48:49], v[73:74]
	v_fma_f64 v[73:74], v[85:86], -0.5, v[44:45]
	v_add_f64 v[85:86], v[36:37], v[93:94]
	v_add_f64 v[22:23], v[22:23], -v[54:55]
	v_add_f64 v[75:76], v[54:55], v[75:76]
	v_add_f64 v[89:90], v[34:35], v[38:39]
	s_waitcnt vmcnt(5)
	v_add_f64 v[91:92], v[30:31], v[42:43]
	s_mov_b32 s16, 0x134454ff
	s_mov_b32 s17, 0xbfee6f0e
	;; [unrolled: 1-line block ×3, first 2 shown]
	v_add_f64 v[85:86], v[32:33], v[85:86]
	s_mov_b32 s14, s16
	v_add_f64 v[83:84], v[50:51], -v[54:55]
	v_add_f64 v[54:55], v[54:55], -v[50:51]
	v_add_f64 v[87:88], v[28:29], v[40:41]
	v_add_f64 v[95:96], v[42:43], v[46:47]
	v_add_f64 v[50:51], v[50:51], v[75:76]
	v_fma_f64 v[75:76], v[89:90], -0.5, v[46:47]
	v_fma_f64 v[46:47], v[91:92], -0.5, v[46:47]
	v_add_f64 v[91:92], v[40:41], -v[36:37]
	v_add_f64 v[93:94], v[36:37], -v[40:41]
	;; [unrolled: 1-line block ×6, first 2 shown]
	v_add_f64 v[28:29], v[28:29], v[85:86]
	v_add_f64 v[71:72], v[81:82], v[71:72]
	v_fma_f64 v[81:82], v[69:70], s[16:17], v[65:66]
	v_fma_f64 v[65:66], v[69:70], s[14:15], v[65:66]
	;; [unrolled: 1-line block ×4, first 2 shown]
	s_mov_b32 s6, 0x4755a5e
	s_mov_b32 s7, 0xbfe2cf23
	;; [unrolled: 1-line block ×4, first 2 shown]
	v_fma_f64 v[81:82], v[22:23], s[6:7], v[81:82]
	v_fma_f64 v[22:23], v[22:23], s[8:9], v[65:66]
	v_add_f64 v[52:53], v[52:53], v[77:78]
	v_fma_f64 v[65:66], v[69:70], s[6:7], v[85:86]
	v_fma_f64 v[56:57], v[69:70], s[8:9], v[56:57]
	s_mov_b32 s4, 0x372fe950
	s_mov_b32 s5, 0x3fd3c6ef
	v_fma_f64 v[44:45], v[87:88], -0.5, v[44:45]
	v_add_f64 v[87:88], v[38:39], v[95:96]
	v_add_f64 v[89:90], v[42:43], -v[30:31]
	v_add_f64 v[95:96], v[42:43], -v[38:39]
	;; [unrolled: 1-line block ×4, first 2 shown]
	v_fma_f64 v[77:78], v[24:25], s[14:15], v[67:68]
	v_fma_f64 v[67:68], v[24:25], s[16:17], v[67:68]
	;; [unrolled: 1-line block ×8, first 2 shown]
	v_add_f64 v[71:72], v[83:84], v[79:80]
	v_fma_f64 v[77:78], v[20:21], s[8:9], v[77:78]
	v_fma_f64 v[20:21], v[20:21], s[6:7], v[67:68]
	v_fma_f64 v[67:68], v[89:90], s[16:17], v[73:74]
	v_fma_f64 v[73:74], v[89:90], s[14:15], v[73:74]
	v_add_f64 v[26:27], v[54:55], v[26:27]
	v_fma_f64 v[54:55], v[24:25], s[8:9], v[56:57]
	v_fma_f64 v[56:57], v[38:39], s[14:15], v[44:45]
	v_fma_f64 v[44:45], v[38:39], s[16:17], v[44:45]
	v_fma_f64 v[24:25], v[24:25], s[6:7], v[58:59]
	v_add_f64 v[58:59], v[97:98], v[91:92]
	v_fma_f64 v[67:68], v[38:39], s[6:7], v[67:68]
	v_fma_f64 v[38:39], v[38:39], s[8:9], v[73:74]
	v_fma_f64 v[73:74], v[71:72], s[4:5], v[77:78]
	v_fma_f64 v[71:72], v[71:72], s[4:5], v[20:21]
	v_add_f64 v[20:21], v[32:33], v[93:94]
	v_fma_f64 v[32:33], v[89:90], s[6:7], v[56:57]
	v_fma_f64 v[44:45], v[89:90], s[8:9], v[44:45]
	v_add_f64 v[87:88], v[34:35], v[87:88]
	v_add_f64 v[99:100], v[30:31], -v[34:35]
	v_add_f64 v[34:35], v[34:35], -v[30:31]
	v_fma_f64 v[54:55], v[26:27], s[4:5], v[54:55]
	v_fma_f64 v[56:57], v[26:27], s[4:5], v[24:25]
	;; [unrolled: 1-line block ×6, first 2 shown]
	s_waitcnt vmcnt(1)
	v_add_f64 v[67:68], v[4:5], v[8:9]
	v_fma_f64 v[32:33], v[20:21], s[4:5], v[32:33]
	v_fma_f64 v[75:76], v[36:37], s[16:17], v[46:47]
	;; [unrolled: 1-line block ×4, first 2 shown]
	v_add_f64 v[46:47], v[99:100], v[95:96]
	v_fma_f64 v[38:39], v[36:37], s[8:9], v[38:39]
	v_fma_f64 v[36:37], v[36:37], s[6:7], v[58:59]
	v_fma_f64 v[58:59], v[67:68], -0.5, v[16:17]
	s_waitcnt vmcnt(0)
	v_add_f64 v[67:68], v[14:15], -v[2:3]
	v_fma_f64 v[75:76], v[40:41], s[8:9], v[75:76]
	v_add_f64 v[34:35], v[34:35], v[42:43]
	v_fma_f64 v[40:41], v[40:41], s[6:7], v[44:45]
	v_add_f64 v[42:43], v[12:13], -v[8:9]
	v_add_f64 v[44:45], v[0:1], v[12:13]
	v_add_f64 v[77:78], v[0:1], -v[4:5]
	v_fma_f64 v[79:80], v[46:47], s[4:5], v[38:39]
	v_fma_f64 v[46:47], v[46:47], s[4:5], v[36:37]
	;; [unrolled: 1-line block ×3, first 2 shown]
	v_add_f64 v[38:39], v[10:11], -v[6:7]
	v_fma_f64 v[75:76], v[34:35], s[4:5], v[75:76]
	v_fma_f64 v[40:41], v[34:35], s[4:5], v[40:41]
	v_fma_f64 v[34:35], v[44:45], -0.5, v[16:17]
	v_fma_f64 v[44:45], v[67:68], s[14:15], v[58:59]
	v_add_f64 v[42:43], v[77:78], v[42:43]
	v_add_f64 v[58:59], v[6:7], v[10:11]
	;; [unrolled: 1-line block ×3, first 2 shown]
	v_add_f64 v[81:82], v[8:9], -v[12:13]
	v_add_f64 v[83:84], v[4:5], -v[0:1]
	v_add_f64 v[16:17], v[12:13], v[16:17]
	v_fma_f64 v[36:37], v[38:39], s[6:7], v[36:37]
	v_fma_f64 v[85:86], v[38:39], s[14:15], v[34:35]
	;; [unrolled: 1-line block ×4, first 2 shown]
	v_fma_f64 v[38:39], v[58:59], -0.5, v[18:19]
	v_fma_f64 v[58:59], v[77:78], -0.5, v[18:19]
	v_add_f64 v[18:19], v[14:15], v[18:19]
	v_add_f64 v[77:78], v[83:84], v[81:82]
	v_add_f64 v[12:13], v[12:13], -v[0:1]
	v_add_f64 v[83:84], v[8:9], -v[4:5]
	v_add_f64 v[8:9], v[8:9], v[16:17]
	v_add_f64 v[30:31], v[30:31], v[87:88]
	v_fma_f64 v[81:82], v[67:68], s[6:7], v[85:86]
	v_fma_f64 v[34:35], v[67:68], s[8:9], v[34:35]
	v_add_f64 v[67:68], v[14:15], -v[10:11]
	v_add_f64 v[14:15], v[10:11], -v[14:15]
	v_add_f64 v[10:11], v[10:11], v[18:19]
	v_fma_f64 v[16:17], v[12:13], s[14:15], v[38:39]
	v_fma_f64 v[18:19], v[12:13], s[16:17], v[38:39]
	v_add_f64 v[38:39], v[6:7], -v[2:3]
	v_fma_f64 v[87:88], v[83:84], s[16:17], v[58:59]
	v_fma_f64 v[58:59], v[83:84], s[14:15], v[58:59]
	v_add_f64 v[4:5], v[4:5], v[8:9]
	v_add_f64 v[85:86], v[2:3], -v[6:7]
	v_add_f64 v[6:7], v[6:7], v[10:11]
	v_fma_f64 v[8:9], v[83:84], s[8:9], v[16:17]
	v_fma_f64 v[10:11], v[83:84], s[6:7], v[18:19]
	v_add_f64 v[14:15], v[38:39], v[14:15]
	v_fma_f64 v[16:17], v[12:13], s[8:9], v[87:88]
	v_fma_f64 v[12:13], v[12:13], s[6:7], v[58:59]
	v_add_f64 v[0:1], v[0:1], v[4:5]
	v_fma_f64 v[4:5], v[42:43], s[4:5], v[36:37]
	v_add_f64 v[67:68], v[85:86], v[67:68]
	v_fma_f64 v[36:37], v[77:78], s[4:5], v[81:82]
	v_fma_f64 v[34:35], v[77:78], s[4:5], v[34:35]
	;; [unrolled: 1-line block ×3, first 2 shown]
	s_load_dwordx2 s[2:3], s[2:3], 0x0
	v_fma_f64 v[77:78], v[14:15], s[4:5], v[12:13]
	v_mad_u32_u24 v12, v64, 40, 0
	v_add_u32_e32 v39, 0x25f8, v12
	ds_write2_b64 v12, v[48:49], v[69:70] offset1:1
	ds_write2_b64 v12, v[65:66], v[52:53] offset0:2 offset1:3
	ds_write_b64 v12, v[22:23] offset:32
	ds_write2_b64 v39, v[28:29], v[24:25] offset1:1
	v_add_u32_e32 v29, 0x2608, v12
	v_add_u32_e32 v48, 0x4bf0, v12
	ds_write2_b64 v29, v[32:33], v[20:21] offset1:1
	ds_write_b64 v12, v[26:27] offset:9752
	ds_write2_b64 v48, v[0:1], v[4:5] offset1:1
	v_lshlrev_b32_e32 v0, 5, v64
	v_add_f64 v[42:43], v[2:3], v[6:7]
	v_fma_f64 v[44:45], v[67:68], s[4:5], v[8:9]
	v_add_u32_e32 v49, 0x4c00, v12
	v_sub_u32_e32 v32, v12, v0
	v_fma_f64 v[58:59], v[67:68], s[4:5], v[10:11]
	v_fma_f64 v[67:68], v[14:15], s[4:5], v[16:17]
	ds_write2_b64 v49, v[36:37], v[34:35] offset1:1
	ds_write_b64 v12, v[18:19] offset:19472
	v_add_u32_e32 v36, 0x1e00, v32
	v_add_u32_e32 v33, 0x4bc0, v32
	;; [unrolled: 1-line block ×6, first 2 shown]
	s_movk_i32 s4, 0xcd
	s_waitcnt lgkmcnt(0)
	s_barrier
	ds_read2_b64 v[8:11], v32 offset1:243
	ds_read2_b64 v[0:3], v36 offset0:12 offset1:255
	ds_read2_b64 v[13:16], v33 offset0:6 offset1:249
	;; [unrolled: 1-line block ×6, first 2 shown]
	ds_read_b64 v[97:98], v32 offset:27216
	s_waitcnt lgkmcnt(0)
	s_barrier
	ds_write2_b64 v12, v[50:51], v[73:74] offset1:1
	ds_write2_b64 v12, v[54:55], v[56:57] offset0:2 offset1:3
	ds_write_b64 v12, v[71:72] offset:32
	ds_write2_b64 v39, v[30:31], v[79:80] offset1:1
	ds_write2_b64 v29, v[75:76], v[40:41] offset1:1
	ds_write_b64 v12, v[46:47] offset:9752
	ds_write2_b64 v48, v[42:43], v[44:45] offset1:1
	ds_write2_b64 v49, v[67:68], v[77:78] offset1:1
	ds_write_b64 v12, v[58:59] offset:19472
	v_mul_lo_u16_sdwa v12, v64, s4 dst_sel:DWORD dst_unused:UNUSED_PAD src0_sel:BYTE_0 src1_sel:DWORD
	v_add_u32_e32 v39, 0xf3, v64
	s_mov_b32 s4, 0xcccd
	v_lshrrev_b16_e32 v31, 10, v12
	v_mul_u32_u24_sdwa v30, v39, s4 dst_sel:DWORD dst_unused:UNUSED_PAD src0_sel:WORD_0 src1_sel:DWORD
	v_mul_lo_u16_e32 v12, 5, v31
	v_lshrrev_b32_e32 v103, 18, v30
	v_sub_u16_e32 v59, v64, v12
	v_mov_b32_e32 v12, 5
	v_mul_lo_u16_e32 v30, 5, v103
	v_lshlrev_b32_sdwa v29, v12, v59 dst_sel:DWORD dst_unused:UNUSED_PAD src0_sel:DWORD src1_sel:BYTE_0
	v_sub_u16_e32 v104, v39, v30
	s_waitcnt lgkmcnt(0)
	s_barrier
	global_load_dwordx4 v[43:46], v29, s[12:13] offset:16
	v_lshlrev_b32_e32 v30, 5, v104
	global_load_dwordx4 v[47:50], v30, s[12:13] offset:16
	global_load_dwordx4 v[51:54], v30, s[12:13]
	v_add_u32_e32 v40, 0x1e6, v64
	v_mul_u32_u24_sdwa v30, v40, s4 dst_sel:DWORD dst_unused:UNUSED_PAD src0_sel:WORD_0 src1_sel:DWORD
	v_lshrrev_b32_e32 v105, 18, v30
	v_mul_lo_u16_e32 v30, 5, v105
	v_sub_u16_e32 v106, v40, v30
	v_lshlrev_b32_e32 v30, 5, v106
	v_add_u32_e32 v41, 0x2d9, v64
	global_load_dwordx4 v[55:58], v30, s[12:13]
	global_load_dwordx4 v[65:68], v30, s[12:13] offset:16
	v_mul_u32_u24_sdwa v30, v41, s4 dst_sel:DWORD dst_unused:UNUSED_PAD src0_sel:WORD_0 src1_sel:DWORD
	v_lshrrev_b32_e32 v107, 18, v30
	v_mul_lo_u16_e32 v30, 5, v107
	v_sub_u16_e32 v108, v41, v30
	v_lshlrev_b32_e32 v30, 5, v108
	global_load_dwordx4 v[69:72], v30, s[12:13] offset:16
	global_load_dwordx4 v[73:76], v29, s[12:13]
	global_load_dwordx4 v[77:80], v30, s[12:13]
	v_add_u32_e32 v42, 0x3cc, v64
	v_mul_u32_u24_sdwa v29, v42, s4 dst_sel:DWORD dst_unused:UNUSED_PAD src0_sel:WORD_0 src1_sel:DWORD
	v_lshrrev_b32_e32 v109, 18, v29
	v_mul_lo_u16_e32 v29, 5, v109
	v_sub_u16_e32 v110, v42, v29
	v_lshlrev_b32_e32 v29, 5, v110
	global_load_dwordx4 v[81:84], v29, s[12:13]
	global_load_dwordx4 v[85:88], v29, s[12:13] offset:16
	ds_read2_b64 v[89:92], v33 offset0:6 offset1:249
	ds_read2_b64 v[93:96], v35 offset0:2 offset1:245
	s_mov_b32 s4, 0xe8584caa
	s_mov_b32 s5, 0xbfebb67a
	;; [unrolled: 1-line block ×4, first 2 shown]
	s_movk_i32 s8, 0x89
	s_movk_i32 s9, 0xa2
	;; [unrolled: 1-line block ×4, first 2 shown]
	s_waitcnt vmcnt(9) lgkmcnt(1)
	v_mul_f64 v[29:30], v[89:90], v[45:46]
	v_mul_f64 v[45:46], v[13:14], v[45:46]
	s_waitcnt vmcnt(8)
	v_mul_f64 v[99:100], v[91:92], v[49:50]
	v_mul_f64 v[49:50], v[15:16], v[49:50]
	s_waitcnt vmcnt(7) lgkmcnt(0)
	v_mul_f64 v[101:102], v[93:94], v[53:54]
	v_mul_f64 v[53:54], v[17:18], v[53:54]
	v_fma_f64 v[29:30], v[13:14], v[43:44], v[29:30]
	v_fma_f64 v[89:90], v[89:90], v[43:44], -v[45:46]
	v_fma_f64 v[99:100], v[15:16], v[47:48], v[99:100]
	v_fma_f64 v[47:48], v[91:92], v[47:48], -v[49:50]
	s_waitcnt vmcnt(6)
	v_mul_f64 v[49:50], v[95:96], v[57:58]
	ds_read2_b64 v[13:16], v37 offset0:4 offset1:247
	ds_read2_b64 v[43:46], v36 offset0:12 offset1:255
	v_fma_f64 v[91:92], v[17:18], v[51:52], v[101:102]
	v_fma_f64 v[51:52], v[93:94], v[51:52], -v[53:54]
	v_mul_f64 v[53:54], v[19:20], v[57:58]
	s_waitcnt vmcnt(5) lgkmcnt(1)
	v_mul_f64 v[57:58], v[13:14], v[67:68]
	v_mul_f64 v[67:68], v[21:22], v[67:68]
	s_waitcnt vmcnt(4)
	v_mul_f64 v[93:94], v[15:16], v[71:72]
	s_waitcnt vmcnt(3) lgkmcnt(0)
	v_mul_f64 v[101:102], v[45:46], v[75:76]
	v_fma_f64 v[49:50], v[19:20], v[55:56], v[49:50]
	ds_read2_b64 v[17:20], v38 offset0:8 offset1:251
	v_mul_f64 v[71:72], v[23:24], v[71:72]
	v_fma_f64 v[53:54], v[95:96], v[55:56], -v[53:54]
	v_fma_f64 v[55:56], v[21:22], v[65:66], v[57:58]
	v_fma_f64 v[57:58], v[13:14], v[65:66], -v[67:68]
	s_waitcnt vmcnt(2) lgkmcnt(0)
	v_mul_f64 v[13:14], v[17:18], v[79:80]
	v_fma_f64 v[65:66], v[23:24], v[69:70], v[93:94]
	v_fma_f64 v[22:23], v[2:3], v[73:74], v[101:102]
	v_mul_f64 v[2:3], v[2:3], v[75:76]
	v_fma_f64 v[67:68], v[15:16], v[69:70], -v[71:72]
	v_mul_f64 v[15:16], v[25:26], v[79:80]
	ds_read_b64 v[71:72], v32 offset:27216
	s_waitcnt vmcnt(1)
	v_mul_f64 v[69:70], v[19:20], v[83:84]
	v_fma_f64 v[75:76], v[25:26], v[77:78], v[13:14]
	v_mul_f64 v[13:14], v[27:28], v[83:84]
	v_add_f64 v[24:25], v[22:23], v[29:30]
	v_fma_f64 v[2:3], v[45:46], v[73:74], -v[2:3]
	s_waitcnt vmcnt(0)
	v_mul_f64 v[73:74], v[97:98], v[87:88]
	v_fma_f64 v[77:78], v[17:18], v[77:78], -v[15:16]
	v_add_f64 v[15:16], v[8:9], v[22:23]
	s_waitcnt lgkmcnt(0)
	v_mul_f64 v[45:46], v[71:72], v[87:88]
	v_fma_f64 v[69:70], v[27:28], v[81:82], v[69:70]
	v_fma_f64 v[26:27], v[19:20], v[81:82], -v[13:14]
	v_fma_f64 v[8:9], v[24:25], -0.5, v[8:9]
	v_add_f64 v[24:25], v[2:3], -v[89:90]
	v_fma_f64 v[71:72], v[71:72], v[85:86], -v[73:74]
	v_mov_b32_e32 v13, 3
	v_add_f64 v[73:74], v[15:16], v[29:30]
	v_mul_u32_u24_e32 v14, 0x78, v31
	v_lshlrev_b32_sdwa v15, v13, v59 dst_sel:DWORD dst_unused:UNUSED_PAD src0_sel:DWORD src1_sel:BYTE_0
	v_add3_u32 v59, 0, v14, v15
	ds_read2_b64 v[14:17], v32 offset1:243
	ds_read2_b64 v[18:21], v34 offset0:6 offset1:249
	v_fma_f64 v[79:80], v[24:25], s[4:5], v[8:9]
	s_waitcnt lgkmcnt(0)
	s_barrier
	v_add_f64 v[81:82], v[51:52], v[47:48]
	v_fma_f64 v[8:9], v[24:25], s[6:7], v[8:9]
	v_add_f64 v[24:25], v[10:11], v[91:92]
	v_add_f64 v[83:84], v[49:50], v[55:56]
	ds_write2_b64 v59, v[73:74], v[79:80] offset1:5
	v_add_f64 v[73:74], v[91:92], v[99:100]
	v_add_f64 v[79:80], v[2:3], v[89:90]
	;; [unrolled: 1-line block ×3, first 2 shown]
	v_fma_f64 v[81:82], v[81:82], -0.5, v[16:17]
	ds_write_b64 v59, v[8:9] offset:80
	v_mul_u32_u24_e32 v8, 0x78, v103
	v_lshlrev_b32_e32 v9, 3, v104
	v_add3_u32 v93, 0, v8, v9
	v_fma_f64 v[10:11], v[73:74], -0.5, v[10:11]
	v_add_f64 v[73:74], v[51:52], -v[47:48]
	v_fma_f64 v[79:80], v[79:80], -0.5, v[14:15]
	v_add_f64 v[51:52], v[16:17], v[51:52]
	v_add_f64 v[14:15], v[24:25], v[99:100]
	v_fma_f64 v[16:17], v[83:84], -0.5, v[4:5]
	v_add_f64 v[4:5], v[4:5], v[49:50]
	v_add_f64 v[24:25], v[53:54], -v[57:58]
	v_fma_f64 v[45:46], v[97:98], v[85:86], v[45:46]
	v_fma_f64 v[83:84], v[73:74], s[4:5], v[10:11]
	;; [unrolled: 1-line block ×3, first 2 shown]
	ds_write2_b64 v93, v[14:15], v[83:84] offset1:5
	ds_write_b64 v93, v[10:11] offset:80
	v_mul_u32_u24_e32 v14, 0x78, v105
	v_lshlrev_b32_e32 v15, 3, v106
	v_add_f64 v[4:5], v[4:5], v[55:56]
	v_fma_f64 v[8:9], v[24:25], s[4:5], v[16:17]
	v_add_f64 v[10:11], v[75:76], v[65:66]
	v_add3_u32 v94, 0, v14, v15
	v_add_f64 v[14:15], v[53:54], v[57:58]
	v_add_f64 v[53:54], v[18:19], v[53:54]
	;; [unrolled: 1-line block ×3, first 2 shown]
	v_add_f64 v[28:29], v[22:23], -v[29:30]
	v_add_f64 v[89:90], v[91:92], -v[99:100]
	ds_write2_b64 v94, v[4:5], v[8:9] offset1:5
	v_add_f64 v[4:5], v[77:78], v[67:68]
	v_fma_f64 v[8:9], v[24:25], s[6:7], v[16:17]
	v_fma_f64 v[10:11], v[10:11], -0.5, v[6:7]
	v_add_f64 v[6:7], v[6:7], v[75:76]
	v_add_f64 v[16:17], v[77:78], -v[67:68]
	v_fma_f64 v[73:74], v[14:15], -0.5, v[18:19]
	v_add_f64 v[14:15], v[69:70], v[45:46]
	v_mul_u32_u24_e32 v18, 0x78, v107
	v_lshlrev_b32_e32 v19, 3, v108
	v_fma_f64 v[83:84], v[4:5], -0.5, v[20:21]
	ds_write_b64 v94, v[8:9] offset:80
	v_add_f64 v[4:5], v[6:7], v[65:66]
	v_fma_f64 v[6:7], v[16:17], s[4:5], v[10:11]
	v_add3_u32 v95, 0, v18, v19
	v_fma_f64 v[8:9], v[14:15], -0.5, v[0:1]
	v_add_f64 v[0:1], v[0:1], v[69:70]
	v_add_f64 v[18:19], v[26:27], v[71:72]
	v_add_f64 v[14:15], v[26:27], -v[71:72]
	v_add_f64 v[49:50], v[49:50], -v[55:56]
	v_add_f64 v[77:78], v[20:21], v[77:78]
	v_add_f64 v[47:48], v[51:52], v[47:48]
	v_add_f64 v[51:52], v[75:76], -v[65:66]
	ds_write2_b64 v95, v[4:5], v[6:7] offset1:5
	v_fma_f64 v[4:5], v[16:17], s[6:7], v[10:11]
	v_add_f64 v[0:1], v[0:1], v[45:46]
	v_fma_f64 v[30:31], v[18:19], -0.5, v[43:44]
	v_add_f64 v[43:44], v[43:44], v[26:27]
	v_add_f64 v[45:46], v[69:70], -v[45:46]
	v_fma_f64 v[2:3], v[14:15], s[4:5], v[8:9]
	v_fma_f64 v[87:88], v[28:29], s[6:7], v[79:80]
	;; [unrolled: 1-line block ×6, first 2 shown]
	v_add_f64 v[53:54], v[53:54], v[57:58]
	v_fma_f64 v[57:58], v[49:50], s[6:7], v[73:74]
	v_fma_f64 v[49:50], v[49:50], s[4:5], v[73:74]
	v_add_f64 v[67:68], v[77:78], v[67:68]
	v_fma_f64 v[69:70], v[51:52], s[6:7], v[83:84]
	v_fma_f64 v[51:52], v[51:52], s[4:5], v[83:84]
	ds_write_b64 v95, v[4:5] offset:80
	v_mul_u32_u24_e32 v4, 0x78, v109
	v_lshlrev_b32_e32 v5, 3, v110
	v_add_f64 v[43:44], v[43:44], v[71:72]
	v_fma_f64 v[71:72], v[45:46], s[6:7], v[30:31]
	v_add3_u32 v96, 0, v4, v5
	v_fma_f64 v[30:31], v[45:46], s[4:5], v[30:31]
	ds_write2_b64 v96, v[0:1], v[2:3] offset1:5
	ds_write_b64 v96, v[6:7] offset:80
	s_waitcnt lgkmcnt(0)
	s_barrier
	ds_read2_b64 v[8:11], v32 offset1:243
	ds_read2_b64 v[0:3], v36 offset0:12 offset1:255
	ds_read_b64 v[97:98], v32 offset:27216
	ds_read2_b64 v[14:17], v33 offset0:6 offset1:249
	ds_read2_b64 v[18:21], v35 offset0:2 offset1:245
	;; [unrolled: 1-line block ×5, first 2 shown]
	s_waitcnt lgkmcnt(0)
	s_barrier
	ds_write2_b64 v59, v[85:86], v[87:88] offset1:5
	ds_write_b64 v59, v[79:80] offset:80
	ds_write2_b64 v93, v[47:48], v[55:56] offset1:5
	ds_write_b64 v93, v[65:66] offset:80
	;; [unrolled: 2-line block ×5, first 2 shown]
	v_mul_lo_u16_sdwa v30, v64, s8 dst_sel:DWORD dst_unused:UNUSED_PAD src0_sel:BYTE_0 src1_sel:DWORD
	s_mov_b32 s8, 0x8889
	v_lshrrev_b16_e32 v59, 11, v30
	v_mul_u32_u24_sdwa v31, v39, s8 dst_sel:DWORD dst_unused:UNUSED_PAD src0_sel:WORD_0 src1_sel:DWORD
	v_mul_lo_u16_e32 v30, 15, v59
	v_lshrrev_b32_e32 v106, 19, v31
	v_sub_u16_e32 v105, v64, v30
	v_mul_lo_u16_e32 v31, 15, v106
	v_lshlrev_b32_sdwa v30, v12, v105 dst_sel:DWORD dst_unused:UNUSED_PAD src0_sel:DWORD src1_sel:BYTE_0
	v_sub_u16_e32 v107, v39, v31
	s_waitcnt lgkmcnt(0)
	s_barrier
	global_load_dwordx4 v[43:46], v30, s[12:13] offset:176
	v_lshlrev_b32_e32 v31, 5, v107
	global_load_dwordx4 v[47:50], v31, s[12:13] offset:176
	global_load_dwordx4 v[51:54], v31, s[12:13] offset:160
	v_mul_u32_u24_sdwa v31, v40, s8 dst_sel:DWORD dst_unused:UNUSED_PAD src0_sel:WORD_0 src1_sel:DWORD
	v_lshrrev_b32_e32 v108, 19, v31
	v_mul_lo_u16_e32 v31, 15, v108
	v_sub_u16_e32 v109, v40, v31
	v_lshlrev_b32_e32 v31, 5, v109
	global_load_dwordx4 v[55:58], v31, s[12:13] offset:160
	global_load_dwordx4 v[65:68], v31, s[12:13] offset:176
	;; [unrolled: 1-line block ×3, first 2 shown]
	v_mul_u32_u24_sdwa v31, v41, s8 dst_sel:DWORD dst_unused:UNUSED_PAD src0_sel:WORD_0 src1_sel:DWORD
	v_lshrrev_b32_e32 v110, 19, v31
	v_mul_lo_u16_e32 v31, 15, v110
	v_sub_u16_e32 v111, v41, v31
	v_lshlrev_b32_e32 v30, 5, v111
	global_load_dwordx4 v[73:76], v30, s[12:13] offset:176
	global_load_dwordx4 v[77:80], v30, s[12:13] offset:160
	v_mul_u32_u24_sdwa v30, v42, s8 dst_sel:DWORD dst_unused:UNUSED_PAD src0_sel:WORD_0 src1_sel:DWORD
	v_lshrrev_b32_e32 v112, 19, v30
	v_mul_lo_u16_e32 v30, 15, v112
	v_sub_u16_e32 v113, v42, v30
	v_lshlrev_b32_e32 v30, 5, v113
	global_load_dwordx4 v[81:84], v30, s[12:13] offset:160
	global_load_dwordx4 v[85:88], v30, s[12:13] offset:176
	ds_read2_b64 v[89:92], v33 offset0:6 offset1:249
	ds_read2_b64 v[93:96], v35 offset0:2 offset1:245
	s_movk_i32 s8, 0x6d
	s_waitcnt vmcnt(9) lgkmcnt(1)
	v_mul_f64 v[30:31], v[89:90], v[45:46]
	v_mul_f64 v[45:46], v[14:15], v[45:46]
	s_waitcnt vmcnt(8)
	v_mul_f64 v[99:100], v[91:92], v[49:50]
	s_waitcnt vmcnt(7) lgkmcnt(0)
	v_mul_f64 v[101:102], v[93:94], v[53:54]
	v_mul_f64 v[53:54], v[18:19], v[53:54]
	;; [unrolled: 1-line block ×3, first 2 shown]
	s_waitcnt vmcnt(6)
	v_mul_f64 v[103:104], v[95:96], v[57:58]
	v_fma_f64 v[30:31], v[14:15], v[43:44], v[30:31]
	v_fma_f64 v[89:90], v[89:90], v[43:44], -v[45:46]
	v_fma_f64 v[99:100], v[16:17], v[47:48], v[99:100]
	ds_read2_b64 v[14:17], v37 offset0:4 offset1:247
	ds_read2_b64 v[43:46], v36 offset0:12 offset1:255
	v_fma_f64 v[101:102], v[18:19], v[51:52], v[101:102]
	v_fma_f64 v[51:52], v[93:94], v[51:52], -v[53:54]
	v_mul_f64 v[18:19], v[20:21], v[57:58]
	s_waitcnt vmcnt(5) lgkmcnt(1)
	v_mul_f64 v[53:54], v[14:15], v[67:68]
	s_waitcnt vmcnt(4) lgkmcnt(0)
	v_mul_f64 v[57:58], v[45:46], v[71:72]
	v_fma_f64 v[93:94], v[20:21], v[55:56], v[103:104]
	v_mul_f64 v[20:21], v[22:23], v[67:68]
	v_fma_f64 v[91:92], v[91:92], v[47:48], -v[49:50]
	ds_read2_b64 v[47:50], v38 offset0:8 offset1:251
	s_waitcnt vmcnt(3)
	v_mul_f64 v[67:68], v[16:17], v[75:76]
	v_mul_f64 v[75:76], v[24:25], v[75:76]
	v_fma_f64 v[53:54], v[22:23], v[65:66], v[53:54]
	v_fma_f64 v[22:23], v[2:3], v[69:70], v[57:58]
	v_mul_f64 v[2:3], v[2:3], v[71:72]
	s_waitcnt vmcnt(2) lgkmcnt(0)
	v_mul_f64 v[103:104], v[47:48], v[79:80]
	v_fma_f64 v[55:56], v[95:96], v[55:56], -v[18:19]
	v_fma_f64 v[57:58], v[14:15], v[65:66], -v[20:21]
	v_mul_f64 v[14:15], v[26:27], v[79:80]
	v_fma_f64 v[65:66], v[24:25], v[73:74], v[67:68]
	v_fma_f64 v[67:68], v[16:17], v[73:74], -v[75:76]
	v_add_f64 v[18:19], v[22:23], v[30:31]
	v_fma_f64 v[2:3], v[45:46], v[69:70], -v[2:3]
	ds_read_b64 v[16:17], v32 offset:27216
	v_fma_f64 v[71:72], v[26:27], v[77:78], v[103:104]
	s_waitcnt vmcnt(1)
	v_mul_f64 v[20:21], v[49:50], v[83:84]
	v_mul_f64 v[24:25], v[28:29], v[83:84]
	v_fma_f64 v[47:48], v[47:48], v[77:78], -v[14:15]
	s_waitcnt vmcnt(0) lgkmcnt(0)
	v_mul_f64 v[26:27], v[16:17], v[87:88]
	v_add_f64 v[14:15], v[8:9], v[22:23]
	v_fma_f64 v[8:9], v[18:19], -0.5, v[8:9]
	v_add_f64 v[69:70], v[2:3], -v[89:90]
	v_mul_f64 v[45:46], v[97:98], v[87:88]
	v_fma_f64 v[73:74], v[28:29], v[81:82], v[20:21]
	v_fma_f64 v[24:25], v[49:50], v[81:82], -v[24:25]
	v_add_f64 v[75:76], v[101:102], v[99:100]
	v_fma_f64 v[49:50], v[97:98], v[85:86], v[26:27]
	v_add_f64 v[26:27], v[14:15], v[30:31]
	v_add_f64 v[77:78], v[93:94], v[53:54]
	v_fma_f64 v[28:29], v[69:70], s[4:5], v[8:9]
	v_fma_f64 v[45:46], v[16:17], v[85:86], -v[45:46]
	v_mul_u32_u24_e32 v16, 0x168, v59
	v_lshlrev_b32_sdwa v17, v13, v105 dst_sel:DWORD dst_unused:UNUSED_PAD src0_sel:DWORD src1_sel:BYTE_0
	v_add3_u32 v59, 0, v16, v17
	ds_read2_b64 v[14:17], v32 offset1:243
	ds_read2_b64 v[18:21], v34 offset0:6 offset1:249
	s_waitcnt lgkmcnt(0)
	s_barrier
	ds_write2_b64 v59, v[26:27], v[28:29] offset1:15
	v_add_f64 v[26:27], v[2:3], v[89:90]
	v_add_f64 v[28:29], v[51:52], v[91:92]
	v_fma_f64 v[8:9], v[69:70], s[6:7], v[8:9]
	v_add_f64 v[69:70], v[10:11], v[101:102]
	v_fma_f64 v[10:11], v[75:76], -0.5, v[10:11]
	v_add_f64 v[75:76], v[51:52], -v[91:92]
	v_add_f64 v[2:3], v[14:15], v[2:3]
	v_add_f64 v[51:52], v[16:17], v[51:52]
	v_fma_f64 v[26:27], v[26:27], -0.5, v[14:15]
	v_fma_f64 v[79:80], v[28:29], -0.5, v[16:17]
	v_fma_f64 v[16:17], v[77:78], -0.5, v[4:5]
	v_add_f64 v[14:15], v[69:70], v[99:100]
	v_add_f64 v[4:5], v[4:5], v[93:94]
	v_add_f64 v[28:29], v[55:56], -v[57:58]
	v_fma_f64 v[69:70], v[75:76], s[4:5], v[10:11]
	v_fma_f64 v[10:11], v[75:76], s[6:7], v[10:11]
	ds_write_b64 v59, v[8:9] offset:240
	v_mul_u32_u24_e32 v8, 0x168, v106
	v_lshlrev_b32_e32 v9, 3, v107
	v_add3_u32 v87, 0, v8, v9
	v_add_f64 v[4:5], v[4:5], v[53:54]
	v_fma_f64 v[8:9], v[28:29], s[4:5], v[16:17]
	ds_write2_b64 v87, v[14:15], v[69:70] offset1:15
	ds_write_b64 v87, v[10:11] offset:240
	v_add_f64 v[10:11], v[71:72], v[65:66]
	v_mul_u32_u24_e32 v14, 0x168, v108
	v_lshlrev_b32_e32 v15, 3, v109
	v_add3_u32 v88, 0, v14, v15
	v_add_f64 v[14:15], v[55:56], v[57:58]
	v_add_f64 v[55:56], v[18:19], v[55:56]
	ds_write2_b64 v88, v[4:5], v[8:9] offset1:15
	v_add_f64 v[4:5], v[47:48], v[67:68]
	v_fma_f64 v[8:9], v[28:29], s[6:7], v[16:17]
	v_fma_f64 v[10:11], v[10:11], -0.5, v[6:7]
	v_add_f64 v[6:7], v[6:7], v[71:72]
	v_add_f64 v[16:17], v[47:48], -v[67:68]
	v_fma_f64 v[69:70], v[14:15], -0.5, v[18:19]
	v_add_f64 v[14:15], v[73:74], v[49:50]
	v_add_f64 v[28:29], v[22:23], -v[30:31]
	v_fma_f64 v[75:76], v[4:5], -0.5, v[20:21]
	ds_write_b64 v88, v[8:9] offset:240
	v_mul_u32_u24_e32 v18, 0x168, v110
	v_add_f64 v[4:5], v[6:7], v[65:66]
	v_fma_f64 v[6:7], v[16:17], s[4:5], v[10:11]
	v_lshlrev_b32_e32 v19, 3, v111
	v_fma_f64 v[8:9], v[14:15], -0.5, v[0:1]
	v_add_f64 v[14:15], v[24:25], -v[45:46]
	v_add_f64 v[0:1], v[0:1], v[73:74]
	v_add3_u32 v95, 0, v18, v19
	v_add_f64 v[18:19], v[24:25], v[45:46]
	v_add_f64 v[85:86], v[101:102], -v[99:100]
	ds_write2_b64 v95, v[4:5], v[6:7] offset1:15
	v_fma_f64 v[4:5], v[16:17], s[6:7], v[10:11]
	v_add_f64 v[77:78], v[2:3], v[89:90]
	v_fma_f64 v[2:3], v[14:15], s[4:5], v[8:9]
	v_add_f64 v[0:1], v[0:1], v[49:50]
	v_fma_f64 v[81:82], v[28:29], s[6:7], v[26:27]
	v_fma_f64 v[6:7], v[14:15], s[6:7], v[8:9]
	v_add_f64 v[53:54], v[93:94], -v[53:54]
	v_add_f64 v[47:48], v[20:21], v[47:48]
	v_add_f64 v[65:66], v[71:72], -v[65:66]
	v_fma_f64 v[30:31], v[18:19], -0.5, v[43:44]
	v_add_f64 v[43:44], v[43:44], v[24:25]
	v_add_f64 v[49:50], v[73:74], -v[49:50]
	ds_write_b64 v95, v[4:5] offset:240
	v_mul_u32_u24_e32 v4, 0x168, v112
	v_lshlrev_b32_e32 v5, 3, v113
	v_add3_u32 v89, 0, v4, v5
	v_fma_f64 v[83:84], v[28:29], s[4:5], v[26:27]
	v_add_f64 v[51:52], v[51:52], v[91:92]
	v_fma_f64 v[71:72], v[85:86], s[6:7], v[79:80]
	ds_write2_b64 v89, v[0:1], v[2:3] offset1:15
	ds_write_b64 v89, v[6:7] offset:240
	s_waitcnt lgkmcnt(0)
	s_barrier
	ds_read2_b64 v[8:11], v32 offset1:243
	ds_read2_b64 v[0:3], v36 offset0:12 offset1:255
	ds_read_b64 v[97:98], v32 offset:27216
	ds_read2_b64 v[14:17], v33 offset0:6 offset1:249
	ds_read2_b64 v[18:21], v35 offset0:2 offset1:245
	;; [unrolled: 1-line block ×5, first 2 shown]
	s_waitcnt lgkmcnt(0)
	s_barrier
	ds_write2_b64 v59, v[77:78], v[81:82] offset1:15
	v_fma_f64 v[77:78], v[85:86], s[4:5], v[79:80]
	v_add_f64 v[55:56], v[55:56], v[57:58]
	v_fma_f64 v[57:58], v[53:54], s[6:7], v[69:70]
	v_fma_f64 v[53:54], v[53:54], s[4:5], v[69:70]
	v_add_f64 v[47:48], v[47:48], v[67:68]
	v_fma_f64 v[67:68], v[65:66], s[6:7], v[75:76]
	;; [unrolled: 3-line block ×3, first 2 shown]
	v_fma_f64 v[30:31], v[49:50], s[4:5], v[30:31]
	ds_write_b64 v59, v[83:84] offset:240
	ds_write2_b64 v87, v[51:52], v[71:72] offset1:15
	ds_write_b64 v87, v[77:78] offset:240
	ds_write2_b64 v88, v[55:56], v[57:58] offset1:15
	;; [unrolled: 2-line block ×4, first 2 shown]
	ds_write_b64 v89, v[30:31] offset:240
	v_mul_lo_u16_sdwa v30, v64, s8 dst_sel:DWORD dst_unused:UNUSED_PAD src0_sel:BYTE_0 src1_sel:DWORD
	v_sub_u16_sdwa v31, v64, v30 dst_sel:DWORD dst_unused:UNUSED_PAD src0_sel:DWORD src1_sel:BYTE_1
	v_lshrrev_b16_e32 v31, 1, v31
	v_and_b32_e32 v31, 0x7f, v31
	v_add_u16_sdwa v30, v31, v30 dst_sel:DWORD dst_unused:UNUSED_PAD src0_sel:DWORD src1_sel:BYTE_1
	v_lshrrev_b16_e32 v59, 5, v30
	v_mul_lo_u16_e32 v30, 45, v59
	s_movk_i32 s8, 0x2d83
	v_sub_u16_e32 v105, v64, v30
	v_mul_u32_u24_sdwa v30, v39, s8 dst_sel:DWORD dst_unused:UNUSED_PAD src0_sel:WORD_0 src1_sel:DWORD
	v_lshrrev_b32_e32 v106, 19, v30
	v_mul_lo_u16_e32 v30, 45, v106
	v_lshlrev_b32_sdwa v12, v12, v105 dst_sel:DWORD dst_unused:UNUSED_PAD src0_sel:DWORD src1_sel:BYTE_0
	v_sub_u16_e32 v107, v39, v30
	s_waitcnt lgkmcnt(0)
	s_barrier
	global_load_dwordx4 v[43:46], v12, s[12:13] offset:656
	v_lshlrev_b32_e32 v30, 5, v107
	global_load_dwordx4 v[47:50], v30, s[12:13] offset:656
	global_load_dwordx4 v[51:54], v30, s[12:13] offset:640
	v_mul_u32_u24_sdwa v30, v40, s8 dst_sel:DWORD dst_unused:UNUSED_PAD src0_sel:WORD_0 src1_sel:DWORD
	v_lshrrev_b32_e32 v108, 19, v30
	v_mul_lo_u16_e32 v30, 45, v108
	v_sub_u16_e32 v109, v40, v30
	v_lshlrev_b32_e32 v30, 5, v109
	global_load_dwordx4 v[55:58], v30, s[12:13] offset:640
	global_load_dwordx4 v[65:68], v30, s[12:13] offset:656
	global_load_dwordx4 v[69:72], v12, s[12:13] offset:640
	v_mul_u32_u24_sdwa v30, v41, s8 dst_sel:DWORD dst_unused:UNUSED_PAD src0_sel:WORD_0 src1_sel:DWORD
	v_lshrrev_b32_e32 v110, 19, v30
	v_mul_lo_u16_e32 v30, 45, v110
	v_sub_u16_e32 v111, v41, v30
	v_lshlrev_b32_e32 v12, 5, v111
	global_load_dwordx4 v[73:76], v12, s[12:13] offset:656
	global_load_dwordx4 v[77:80], v12, s[12:13] offset:640
	v_mul_u32_u24_sdwa v12, v42, s8 dst_sel:DWORD dst_unused:UNUSED_PAD src0_sel:WORD_0 src1_sel:DWORD
	v_lshrrev_b32_e32 v112, 19, v12
	v_mul_lo_u16_e32 v12, 45, v112
	v_sub_u16_e32 v113, v42, v12
	v_lshlrev_b32_e32 v12, 5, v113
	global_load_dwordx4 v[81:84], v12, s[12:13] offset:640
	global_load_dwordx4 v[85:88], v12, s[12:13] offset:656
	ds_read2_b64 v[89:92], v33 offset0:6 offset1:249
	ds_read2_b64 v[93:96], v35 offset0:2 offset1:245
	v_lshlrev_b32_sdwa v12, v13, v105 dst_sel:DWORD dst_unused:UNUSED_PAD src0_sel:DWORD src1_sel:BYTE_0
	v_mul_u32_u24_e32 v13, 0x438, v59
	v_add3_u32 v59, 0, v13, v12
	s_movk_i32 s8, 0x87
	v_cmp_gt_u32_e32 vcc, s8, v64
	s_movk_i32 s8, 0x795d
	s_waitcnt vmcnt(9) lgkmcnt(1)
	v_mul_f64 v[30:31], v[89:90], v[45:46]
	v_mul_f64 v[45:46], v[14:15], v[45:46]
	s_waitcnt vmcnt(8)
	v_mul_f64 v[99:100], v[91:92], v[49:50]
	s_waitcnt vmcnt(7) lgkmcnt(0)
	v_mul_f64 v[101:102], v[93:94], v[53:54]
	v_mul_f64 v[53:54], v[18:19], v[53:54]
	;; [unrolled: 1-line block ×3, first 2 shown]
	s_waitcnt vmcnt(6)
	v_mul_f64 v[103:104], v[95:96], v[57:58]
	v_fma_f64 v[30:31], v[14:15], v[43:44], v[30:31]
	v_fma_f64 v[89:90], v[89:90], v[43:44], -v[45:46]
	v_fma_f64 v[99:100], v[16:17], v[47:48], v[99:100]
	ds_read2_b64 v[14:17], v37 offset0:4 offset1:247
	ds_read2_b64 v[43:46], v36 offset0:12 offset1:255
	v_fma_f64 v[101:102], v[18:19], v[51:52], v[101:102]
	v_fma_f64 v[51:52], v[93:94], v[51:52], -v[53:54]
	v_mul_f64 v[18:19], v[20:21], v[57:58]
	s_waitcnt vmcnt(5) lgkmcnt(1)
	v_mul_f64 v[53:54], v[14:15], v[67:68]
	s_waitcnt vmcnt(4) lgkmcnt(0)
	v_mul_f64 v[57:58], v[45:46], v[71:72]
	v_fma_f64 v[93:94], v[20:21], v[55:56], v[103:104]
	v_mul_f64 v[20:21], v[22:23], v[67:68]
	s_waitcnt vmcnt(3)
	v_mul_f64 v[67:68], v[16:17], v[75:76]
	v_fma_f64 v[91:92], v[91:92], v[47:48], -v[49:50]
	ds_read2_b64 v[47:50], v38 offset0:8 offset1:251
	v_fma_f64 v[55:56], v[95:96], v[55:56], -v[18:19]
	v_fma_f64 v[53:54], v[22:23], v[65:66], v[53:54]
	v_fma_f64 v[22:23], v[2:3], v[69:70], v[57:58]
	v_mul_f64 v[2:3], v[2:3], v[71:72]
	v_fma_f64 v[57:58], v[14:15], v[65:66], -v[20:21]
	s_waitcnt vmcnt(2)
	v_mul_f64 v[14:15], v[26:27], v[79:80]
	v_mul_f64 v[75:76], v[24:25], v[75:76]
	s_waitcnt lgkmcnt(0)
	v_mul_f64 v[103:104], v[47:48], v[79:80]
	v_fma_f64 v[65:66], v[24:25], v[73:74], v[67:68]
	s_waitcnt vmcnt(1)
	v_mul_f64 v[20:21], v[49:50], v[83:84]
	v_add_f64 v[18:19], v[22:23], v[30:31]
	v_fma_f64 v[2:3], v[45:46], v[69:70], -v[2:3]
	v_mul_f64 v[24:25], v[28:29], v[83:84]
	s_waitcnt vmcnt(0)
	v_mul_f64 v[45:46], v[97:98], v[87:88]
	v_fma_f64 v[47:48], v[47:48], v[77:78], -v[14:15]
	v_add_f64 v[14:15], v[8:9], v[22:23]
	v_fma_f64 v[67:68], v[16:17], v[73:74], -v[75:76]
	ds_read_b64 v[16:17], v32 offset:27216
	v_fma_f64 v[8:9], v[18:19], -0.5, v[8:9]
	v_add_f64 v[69:70], v[2:3], -v[89:90]
	v_fma_f64 v[28:29], v[28:29], v[81:82], v[20:21]
	v_fma_f64 v[20:21], v[49:50], v[81:82], -v[24:25]
	s_waitcnt lgkmcnt(0)
	v_fma_f64 v[49:50], v[16:17], v[85:86], -v[45:46]
	v_add_f64 v[45:46], v[14:15], v[30:31]
	v_add_f64 v[75:76], v[101:102], v[99:100]
	v_fma_f64 v[71:72], v[26:27], v[77:78], v[103:104]
	v_mul_f64 v[26:27], v[16:17], v[87:88]
	v_fma_f64 v[73:74], v[69:70], s[4:5], v[8:9]
	ds_read2_b64 v[12:15], v32 offset1:243
	ds_read2_b64 v[16:19], v34 offset0:6 offset1:249
	s_waitcnt lgkmcnt(0)
	s_barrier
	v_fma_f64 v[8:9], v[69:70], s[6:7], v[8:9]
	v_add_f64 v[69:70], v[10:11], v[101:102]
	v_add_f64 v[77:78], v[93:94], v[53:54]
	ds_write2_b64 v59, v[45:46], v[73:74] offset1:45
	v_add_f64 v[45:46], v[2:3], v[89:90]
	v_add_f64 v[73:74], v[51:52], v[91:92]
	v_fma_f64 v[10:11], v[75:76], -0.5, v[10:11]
	v_add_f64 v[75:76], v[51:52], -v[91:92]
	v_add_f64 v[2:3], v[12:13], v[2:3]
	v_add_f64 v[51:52], v[14:15], v[51:52]
	ds_write_b64 v59, v[8:9] offset:720
	v_mul_u32_u24_e32 v8, 0x438, v106
	v_fma_f64 v[79:80], v[45:46], -0.5, v[12:13]
	v_fma_f64 v[73:74], v[73:74], -0.5, v[14:15]
	v_add_f64 v[12:13], v[69:70], v[99:100]
	v_fma_f64 v[14:15], v[77:78], -0.5, v[4:5]
	v_add_f64 v[4:5], v[4:5], v[93:94]
	v_add_f64 v[45:46], v[55:56], -v[57:58]
	v_fma_f64 v[69:70], v[75:76], s[4:5], v[10:11]
	v_fma_f64 v[10:11], v[75:76], s[6:7], v[10:11]
	v_lshlrev_b32_e32 v9, 3, v107
	v_add3_u32 v95, 0, v8, v9
	ds_write2_b64 v95, v[12:13], v[69:70] offset1:45
	ds_write_b64 v95, v[10:11] offset:720
	v_add_f64 v[4:5], v[4:5], v[53:54]
	v_fma_f64 v[8:9], v[45:46], s[4:5], v[14:15]
	v_add_f64 v[10:11], v[71:72], v[65:66]
	v_mul_u32_u24_e32 v12, 0x438, v108
	v_lshlrev_b32_e32 v13, 3, v109
	v_fma_f64 v[25:26], v[97:98], v[85:86], v[26:27]
	v_add3_u32 v96, 0, v12, v13
	v_add_f64 v[12:13], v[55:56], v[57:58]
	v_add_f64 v[55:56], v[16:17], v[55:56]
	ds_write2_b64 v96, v[4:5], v[8:9] offset1:45
	v_add_f64 v[4:5], v[47:48], v[67:68]
	v_fma_f64 v[8:9], v[45:46], s[6:7], v[14:15]
	v_fma_f64 v[10:11], v[10:11], -0.5, v[6:7]
	v_add_f64 v[6:7], v[6:7], v[71:72]
	v_add_f64 v[14:15], v[47:48], -v[67:68]
	v_fma_f64 v[69:70], v[12:13], -0.5, v[16:17]
	v_add_f64 v[12:13], v[28:29], v[25:26]
	v_mul_u32_u24_e32 v16, 0x438, v110
	v_fma_f64 v[75:76], v[4:5], -0.5, v[18:19]
	v_lshlrev_b32_e32 v17, 3, v111
	ds_write_b64 v96, v[8:9] offset:720
	v_add_f64 v[4:5], v[6:7], v[65:66]
	v_fma_f64 v[6:7], v[14:15], s[4:5], v[10:11]
	v_add3_u32 v103, 0, v16, v17
	v_fma_f64 v[8:9], v[12:13], -0.5, v[0:1]
	v_add_f64 v[0:1], v[0:1], v[28:29]
	v_add_f64 v[16:17], v[20:21], v[49:50]
	v_add_f64 v[12:13], v[20:21], -v[49:50]
	v_add_f64 v[30:31], v[22:23], -v[30:31]
	;; [unrolled: 1-line block ×4, first 2 shown]
	v_add_f64 v[47:48], v[18:19], v[47:48]
	v_add_f64 v[65:66], v[71:72], -v[65:66]
	ds_write2_b64 v103, v[4:5], v[6:7] offset1:45
	v_fma_f64 v[4:5], v[14:15], s[6:7], v[10:11]
	v_add_f64 v[0:1], v[0:1], v[25:26]
	v_fma_f64 v[81:82], v[16:17], -0.5, v[43:44]
	v_add_f64 v[83:84], v[43:44], v[20:21]
	v_add_f64 v[25:26], v[28:29], -v[25:26]
	v_add_f64 v[77:78], v[2:3], v[89:90]
	v_fma_f64 v[2:3], v[12:13], s[4:5], v[8:9]
	v_fma_f64 v[85:86], v[30:31], s[6:7], v[79:80]
	;; [unrolled: 1-line block ×4, first 2 shown]
	v_add_f64 v[51:52], v[51:52], v[91:92]
	v_fma_f64 v[71:72], v[87:88], s[6:7], v[73:74]
	v_fma_f64 v[73:74], v[87:88], s[4:5], v[73:74]
	v_add_f64 v[27:28], v[55:56], v[57:58]
	v_fma_f64 v[55:56], v[53:54], s[6:7], v[69:70]
	v_fma_f64 v[53:54], v[53:54], s[4:5], v[69:70]
	v_add_f64 v[47:48], v[47:48], v[67:68]
	v_fma_f64 v[57:58], v[65:66], s[6:7], v[75:76]
	ds_write_b64 v103, v[4:5] offset:720
	v_mul_u32_u24_e32 v4, 0x438, v112
	v_lshlrev_b32_e32 v5, 3, v113
	v_fma_f64 v[65:66], v[65:66], s[4:5], v[75:76]
	v_add3_u32 v12, 0, v4, v5
	v_add_f64 v[49:50], v[83:84], v[49:50]
	v_fma_f64 v[67:68], v[25:26], s[6:7], v[81:82]
	ds_write2_b64 v12, v[0:1], v[2:3] offset1:45
	ds_write_b64 v12, v[6:7] offset:720
	s_waitcnt lgkmcnt(0)
	s_barrier
	ds_read2_b64 v[8:11], v32 offset1:243
	ds_read2_b64 v[0:3], v36 offset0:12 offset1:255
	ds_read_b64 v[97:98], v32 offset:27216
	ds_read2_b64 v[13:16], v33 offset0:6 offset1:249
	ds_read2_b64 v[17:20], v35 offset0:2 offset1:245
	;; [unrolled: 1-line block ×5, first 2 shown]
	s_waitcnt lgkmcnt(0)
	s_barrier
	ds_write2_b64 v59, v[77:78], v[85:86] offset1:45
	v_fma_f64 v[25:26], v[25:26], s[4:5], v[81:82]
	ds_write_b64 v59, v[30:31] offset:720
	ds_write2_b64 v95, v[51:52], v[71:72] offset1:45
	ds_write_b64 v95, v[73:74] offset:720
	ds_write2_b64 v96, v[27:28], v[55:56] offset1:45
	;; [unrolled: 2-line block ×4, first 2 shown]
	ds_write_b64 v12, v[25:26] offset:720
	v_add_u32_e32 v12, 0xffffff79, v64
	v_cndmask_b32_e32 v59, v12, v64, vcc
	v_lshlrev_b32_e32 v28, 1, v59
	v_mov_b32_e32 v29, 0
	v_mul_u32_u24_sdwa v47, v39, s8 dst_sel:DWORD dst_unused:UNUSED_PAD src0_sel:WORD_0 src1_sel:DWORD
	v_lshlrev_b64 v[25:26], 4, v[28:29]
	v_lshrrev_b32_e32 v103, 22, v47
	v_mul_lo_u16_e32 v47, 0x87, v103
	v_mov_b32_e32 v12, s13
	v_add_co_u32_e32 v30, vcc, s12, v25
	v_sub_u16_e32 v104, v39, v47
	v_addc_co_u32_e32 v31, vcc, v12, v26, vcc
	v_lshlrev_b32_e32 v55, 5, v104
	s_waitcnt lgkmcnt(0)
	s_barrier
	global_load_dwordx4 v[25:28], v[30:31], off offset:2096
	global_load_dwordx4 v[47:50], v55, s[12:13] offset:2096
	global_load_dwordx4 v[51:54], v55, s[12:13] offset:2080
	v_mul_u32_u24_sdwa v55, v40, s8 dst_sel:DWORD dst_unused:UNUSED_PAD src0_sel:WORD_0 src1_sel:DWORD
	v_lshrrev_b32_e32 v105, 22, v55
	v_mul_lo_u16_e32 v55, 0x87, v105
	v_sub_u16_e32 v106, v40, v55
	v_lshlrev_b32_e32 v69, 5, v106
	global_load_dwordx4 v[55:58], v69, s[12:13] offset:2080
	global_load_dwordx4 v[65:68], v69, s[12:13] offset:2096
	v_mul_u32_u24_sdwa v69, v41, s8 dst_sel:DWORD dst_unused:UNUSED_PAD src0_sel:WORD_0 src1_sel:DWORD
	v_lshrrev_b32_e32 v107, 22, v69
	v_mul_lo_u16_e32 v69, 0x87, v107
	v_sub_u16_e32 v108, v41, v69
	v_lshlrev_b32_e32 v81, 5, v108
	global_load_dwordx4 v[69:72], v81, s[12:13] offset:2096
	global_load_dwordx4 v[73:76], v[30:31], off offset:2080
	global_load_dwordx4 v[77:80], v81, s[12:13] offset:2080
	v_mul_u32_u24_sdwa v30, v42, s8 dst_sel:DWORD dst_unused:UNUSED_PAD src0_sel:WORD_0 src1_sel:DWORD
	v_lshrrev_b32_e32 v109, 22, v30
	v_mul_lo_u16_e32 v30, 0x87, v109
	v_sub_u16_e32 v110, v42, v30
	v_lshlrev_b32_e32 v30, 5, v110
	global_load_dwordx4 v[81:84], v30, s[12:13] offset:2080
	global_load_dwordx4 v[85:88], v30, s[12:13] offset:2096
	ds_read2_b64 v[89:92], v33 offset0:6 offset1:249
	ds_read2_b64 v[93:96], v35 offset0:2 offset1:245
	s_movk_i32 s8, 0x86
	v_cmp_lt_u32_e32 vcc, s8, v64
	s_movk_i32 s8, 0x1900
	s_waitcnt vmcnt(8) lgkmcnt(1)
	v_mul_f64 v[99:100], v[91:92], v[49:50]
	v_mul_f64 v[49:50], v[15:16], v[49:50]
	;; [unrolled: 1-line block ×4, first 2 shown]
	s_waitcnt vmcnt(7) lgkmcnt(0)
	v_mul_f64 v[101:102], v[93:94], v[53:54]
	v_mul_f64 v[53:54], v[17:18], v[53:54]
	v_fma_f64 v[99:100], v[15:16], v[47:48], v[99:100]
	v_fma_f64 v[49:50], v[91:92], v[47:48], -v[49:50]
	s_waitcnt vmcnt(6)
	v_mul_f64 v[47:48], v[95:96], v[57:58]
	v_mul_f64 v[57:58], v[19:20], v[57:58]
	v_fma_f64 v[30:31], v[13:14], v[25:26], v[30:31]
	v_fma_f64 v[89:90], v[89:90], v[25:26], -v[27:28]
	ds_read2_b64 v[13:16], v37 offset0:4 offset1:247
	ds_read2_b64 v[25:28], v36 offset0:12 offset1:255
	v_fma_f64 v[91:92], v[17:18], v[51:52], v[101:102]
	v_fma_f64 v[51:52], v[93:94], v[51:52], -v[53:54]
	v_fma_f64 v[101:102], v[19:20], v[55:56], v[47:48]
	s_waitcnt vmcnt(5) lgkmcnt(1)
	v_mul_f64 v[53:54], v[13:14], v[67:68]
	v_mul_f64 v[67:68], v[21:22], v[67:68]
	s_waitcnt vmcnt(4)
	v_mul_f64 v[93:94], v[15:16], v[71:72]
	v_fma_f64 v[47:48], v[95:96], v[55:56], -v[57:58]
	s_waitcnt vmcnt(3) lgkmcnt(0)
	v_mul_f64 v[55:56], v[27:28], v[75:76]
	ds_read2_b64 v[17:20], v38 offset0:8 offset1:251
	v_mul_f64 v[57:58], v[23:24], v[71:72]
	v_fma_f64 v[53:54], v[21:22], v[65:66], v[53:54]
	v_fma_f64 v[65:66], v[13:14], v[65:66], -v[67:68]
	v_fma_f64 v[67:68], v[23:24], v[69:70], v[93:94]
	s_waitcnt vmcnt(2) lgkmcnt(0)
	v_mul_f64 v[13:14], v[17:18], v[79:80]
	v_fma_f64 v[23:24], v[2:3], v[73:74], v[55:56]
	v_mul_f64 v[2:3], v[2:3], v[75:76]
	ds_read_b64 v[21:22], v32 offset:27216
	v_fma_f64 v[55:56], v[15:16], v[69:70], -v[57:58]
	v_mul_f64 v[15:16], v[43:44], v[79:80]
	s_waitcnt vmcnt(1)
	v_mul_f64 v[57:58], v[19:20], v[83:84]
	v_mul_f64 v[69:70], v[45:46], v[83:84]
	s_waitcnt vmcnt(0) lgkmcnt(0)
	v_mul_f64 v[71:72], v[21:22], v[87:88]
	v_fma_f64 v[43:44], v[43:44], v[77:78], v[13:14]
	v_add_f64 v[13:14], v[23:24], v[30:31]
	v_fma_f64 v[2:3], v[27:28], v[73:74], -v[2:3]
	v_mul_f64 v[27:28], v[97:98], v[87:88]
	v_fma_f64 v[73:74], v[17:18], v[77:78], -v[15:16]
	v_fma_f64 v[57:58], v[45:46], v[81:82], v[57:58]
	v_fma_f64 v[45:46], v[19:20], v[81:82], -v[69:70]
	v_fma_f64 v[69:70], v[97:98], v[85:86], v[71:72]
	v_add_f64 v[15:16], v[8:9], v[23:24]
	v_fma_f64 v[8:9], v[13:14], -0.5, v[8:9]
	v_add_f64 v[71:72], v[2:3], -v[89:90]
	v_fma_f64 v[27:28], v[21:22], v[85:86], -v[27:28]
	v_add_f64 v[77:78], v[91:92], v[99:100]
	v_mov_b32_e32 v13, 0xca8
	v_cndmask_b32_e32 v13, 0, v13, vcc
	v_lshlrev_b32_e32 v14, 3, v59
	v_add_f64 v[21:22], v[15:16], v[30:31]
	v_add3_u32 v59, 0, v13, v14
	v_fma_f64 v[75:76], v[71:72], s[4:5], v[8:9]
	ds_read2_b64 v[13:16], v32 offset1:243
	ds_read2_b64 v[17:20], v34 offset0:6 offset1:249
	s_waitcnt lgkmcnt(0)
	s_barrier
	v_fma_f64 v[8:9], v[71:72], s[6:7], v[8:9]
	v_add_f64 v[71:72], v[10:11], v[91:92]
	v_add_f64 v[79:80], v[101:102], v[53:54]
	ds_write2_b64 v59, v[21:22], v[75:76] offset1:135
	v_add_f64 v[21:22], v[2:3], v[89:90]
	v_add_f64 v[75:76], v[51:52], v[49:50]
	v_fma_f64 v[10:11], v[77:78], -0.5, v[10:11]
	v_add_f64 v[77:78], v[51:52], -v[49:50]
	v_add_f64 v[2:3], v[13:14], v[2:3]
	v_add_f64 v[51:52], v[15:16], v[51:52]
	ds_write_b64 v59, v[8:9] offset:2160
	v_mul_u32_u24_e32 v8, 0xca8, v103
	v_fma_f64 v[81:82], v[21:22], -0.5, v[13:14]
	v_fma_f64 v[75:76], v[75:76], -0.5, v[15:16]
	v_add_f64 v[13:14], v[71:72], v[99:100]
	v_fma_f64 v[15:16], v[79:80], -0.5, v[4:5]
	v_add_f64 v[4:5], v[4:5], v[101:102]
	v_add_f64 v[21:22], v[47:48], -v[65:66]
	v_fma_f64 v[71:72], v[77:78], s[4:5], v[10:11]
	v_fma_f64 v[10:11], v[77:78], s[6:7], v[10:11]
	v_lshlrev_b32_e32 v9, 3, v104
	v_add3_u32 v93, 0, v8, v9
	ds_write2_b64 v93, v[13:14], v[71:72] offset1:135
	ds_write_b64 v93, v[10:11] offset:2160
	v_add_f64 v[4:5], v[4:5], v[53:54]
	v_fma_f64 v[8:9], v[21:22], s[4:5], v[15:16]
	v_add_f64 v[10:11], v[43:44], v[67:68]
	v_mul_u32_u24_e32 v13, 0xca8, v105
	v_lshlrev_b32_e32 v14, 3, v106
	v_add3_u32 v94, 0, v13, v14
	v_add_f64 v[13:14], v[47:48], v[65:66]
	v_add_f64 v[30:31], v[23:24], -v[30:31]
	v_add_f64 v[71:72], v[17:18], v[47:48]
	ds_write2_b64 v94, v[4:5], v[8:9] offset1:135
	v_add_f64 v[4:5], v[73:74], v[55:56]
	v_fma_f64 v[8:9], v[21:22], s[6:7], v[15:16]
	v_fma_f64 v[10:11], v[10:11], -0.5, v[6:7]
	v_add_f64 v[6:7], v[6:7], v[43:44]
	v_add_f64 v[15:16], v[73:74], -v[55:56]
	v_fma_f64 v[77:78], v[13:14], -0.5, v[17:18]
	v_add_f64 v[13:14], v[57:58], v[69:70]
	v_mul_u32_u24_e32 v17, 0xca8, v107
	v_fma_f64 v[79:80], v[4:5], -0.5, v[19:20]
	ds_write_b64 v94, v[8:9] offset:2160
	v_lshlrev_b32_e32 v18, 3, v108
	v_add_f64 v[4:5], v[6:7], v[67:68]
	v_fma_f64 v[6:7], v[15:16], s[4:5], v[10:11]
	v_add3_u32 v95, 0, v17, v18
	v_fma_f64 v[8:9], v[13:14], -0.5, v[0:1]
	v_add_f64 v[13:14], v[45:46], -v[27:28]
	v_add_f64 v[0:1], v[0:1], v[57:58]
	v_add_f64 v[17:18], v[45:46], v[27:28]
	;; [unrolled: 1-line block ×3, first 2 shown]
	v_fma_f64 v[87:88], v[30:31], s[6:7], v[81:82]
	ds_write2_b64 v95, v[4:5], v[6:7] offset1:135
	v_fma_f64 v[4:5], v[15:16], s[6:7], v[10:11]
	v_fma_f64 v[30:31], v[30:31], s[4:5], v[81:82]
	;; [unrolled: 1-line block ×3, first 2 shown]
	v_add_f64 v[0:1], v[0:1], v[69:70]
	v_add_f64 v[81:82], v[91:92], -v[99:100]
	v_fma_f64 v[6:7], v[13:14], s[6:7], v[8:9]
	v_add_f64 v[53:54], v[101:102], -v[53:54]
	v_add_f64 v[73:74], v[19:20], v[73:74]
	v_add_f64 v[43:44], v[43:44], -v[67:68]
	v_fma_f64 v[85:86], v[17:18], -0.5, v[25:26]
	v_add_f64 v[25:26], v[25:26], v[45:46]
	ds_write_b64 v95, v[4:5] offset:2160
	v_mul_u32_u24_e32 v4, 0xca8, v109
	v_lshlrev_b32_e32 v5, 3, v110
	v_add_f64 v[57:58], v[57:58], -v[69:70]
	v_add3_u32 v89, 0, v4, v5
	ds_write2_b64 v89, v[0:1], v[2:3] offset1:135
	ds_write_b64 v89, v[6:7] offset:2160
	s_waitcnt lgkmcnt(0)
	s_barrier
	ds_read2_b64 v[8:11], v32 offset1:243
	ds_read_b64 v[97:98], v32 offset:27216
	ds_read2_b64 v[0:3], v36 offset0:12 offset1:255
	ds_read2_b64 v[13:16], v33 offset0:6 offset1:249
	;; [unrolled: 1-line block ×6, first 2 shown]
	s_waitcnt lgkmcnt(0)
	s_barrier
	ds_write_b64 v59, v[30:31] offset:2160
	v_add_f64 v[30:31], v[51:52], v[49:50]
	v_fma_f64 v[49:50], v[81:82], s[6:7], v[75:76]
	v_fma_f64 v[51:52], v[81:82], s[4:5], v[75:76]
	v_add_f64 v[65:66], v[71:72], v[65:66]
	v_fma_f64 v[67:68], v[53:54], s[6:7], v[77:78]
	v_fma_f64 v[53:54], v[53:54], s[4:5], v[77:78]
	;; [unrolled: 3-line block ×4, first 2 shown]
	ds_write2_b64 v59, v[83:84], v[87:88] offset1:135
	ds_write2_b64 v93, v[30:31], v[49:50] offset1:135
	ds_write_b64 v93, v[51:52] offset:2160
	ds_write2_b64 v94, v[65:66], v[67:68] offset1:135
	ds_write_b64 v94, v[53:54] offset:2160
	;; [unrolled: 2-line block ×4, first 2 shown]
	v_lshlrev_b32_e32 v28, 1, v64
	v_lshlrev_b64 v[25:26], 4, v[28:29]
	s_waitcnt lgkmcnt(0)
	v_add_co_u32_e32 v43, vcc, s12, v25
	v_addc_co_u32_e32 v44, vcc, v12, v26, vcc
	v_add_co_u32_e32 v25, vcc, s8, v43
	v_addc_co_u32_e32 v26, vcc, 0, v44, vcc
	s_barrier
	global_load_dwordx4 v[49:52], v[25:26], off offset:16
	v_add_u32_e32 v25, 0xffffff5e, v64
	v_cmp_gt_u32_e32 vcc, s9, v64
	v_cndmask_b32_e32 v59, v25, v39, vcc
	v_lshlrev_b32_e32 v25, 1, v59
	v_mov_b32_e32 v26, v29
	v_lshlrev_b64 v[25:26], 4, v[25:26]
	s_movk_i32 s9, 0x1000
	v_add_co_u32_e32 v27, vcc, s12, v25
	v_addc_co_u32_e32 v31, vcc, v12, v26, vcc
	v_add_co_u32_e32 v25, vcc, s8, v27
	v_addc_co_u32_e32 v26, vcc, 0, v31, vcc
	v_add_co_u32_e32 v30, vcc, s9, v27
	v_add_u32_e32 v28, 0xa2, v28
	v_addc_co_u32_e32 v31, vcc, 0, v31, vcc
	global_load_dwordx4 v[53:56], v[25:26], off offset:16
	global_load_dwordx4 v[65:68], v[30:31], off offset:2304
	v_lshlrev_b64 v[25:26], 4, v[28:29]
	v_add_co_u32_e32 v25, vcc, s12, v25
	v_addc_co_u32_e32 v26, vcc, v12, v26, vcc
	v_add_co_u32_e32 v30, vcc, s9, v25
	v_addc_co_u32_e32 v31, vcc, 0, v26, vcc
	;; [unrolled: 2-line block ×3, first 2 shown]
	global_load_dwordx4 v[25:28], v[30:31], off offset:2304
	global_load_dwordx4 v[69:72], v[57:58], off offset:16
	v_mul_u32_u24_sdwa v30, v41, s14 dst_sel:DWORD dst_unused:UNUSED_PAD src0_sel:WORD_0 src1_sel:DWORD
	v_sub_u16_sdwa v31, v41, v30 dst_sel:DWORD dst_unused:UNUSED_PAD src0_sel:DWORD src1_sel:WORD_1
	v_lshrrev_b16_e32 v31, 1, v31
	v_add_u16_sdwa v105, v31, v30 dst_sel:DWORD dst_unused:UNUSED_PAD src0_sel:DWORD src1_sel:WORD_1
	v_mul_lo_u16_sdwa v30, v105, s15 dst_sel:DWORD dst_unused:UNUSED_PAD src0_sel:BYTE_1 src1_sel:DWORD
	v_sub_u16_e32 v106, v41, v30
	v_lshlrev_b32_e32 v30, 5, v106
	v_add_co_u32_e32 v57, vcc, s12, v30
	v_addc_co_u32_e32 v58, vcc, 0, v12, vcc
	v_add_co_u32_e32 v30, vcc, s8, v57
	v_addc_co_u32_e32 v31, vcc, 0, v58, vcc
	;; [unrolled: 2-line block ×3, first 2 shown]
	global_load_dwordx4 v[73:76], v[30:31], off offset:16
	global_load_dwordx4 v[77:80], v[57:58], off offset:2304
	v_add_co_u32_e32 v30, vcc, s9, v43
	v_addc_co_u32_e32 v31, vcc, 0, v44, vcc
	global_load_dwordx4 v[81:84], v[30:31], off offset:2304
	v_mul_u32_u24_sdwa v57, v42, s14 dst_sel:DWORD dst_unused:UNUSED_PAD src0_sel:WORD_0 src1_sel:DWORD
	v_sub_u16_sdwa v58, v42, v57 dst_sel:DWORD dst_unused:UNUSED_PAD src0_sel:DWORD src1_sel:WORD_1
	v_lshrrev_b16_e32 v30, 1, v58
	v_add_u16_sdwa v30, v30, v57 dst_sel:DWORD dst_unused:UNUSED_PAD src0_sel:DWORD src1_sel:WORD_1
	v_mul_lo_u16_sdwa v30, v30, s15 dst_sel:DWORD dst_unused:UNUSED_PAD src0_sel:BYTE_1 src1_sel:DWORD
	v_sub_u16_e32 v107, v42, v30
	v_lshlrev_b32_e32 v30, 5, v107
	v_add_co_u32_e32 v57, vcc, s12, v30
	v_addc_co_u32_e32 v12, vcc, 0, v12, vcc
	v_add_co_u32_e32 v30, vcc, s9, v57
	v_addc_co_u32_e32 v31, vcc, 0, v12, vcc
	global_load_dwordx4 v[85:88], v[30:31], off offset:2304
	v_add_co_u32_e32 v30, vcc, s8, v57
	v_addc_co_u32_e32 v31, vcc, 0, v12, vcc
	global_load_dwordx4 v[89:92], v[30:31], off offset:16
	ds_read2_b64 v[93:96], v33 offset0:6 offset1:249
	s_movk_i32 s8, 0xa1
	v_cmp_lt_u32_e32 vcc, s8, v64
	s_movk_i32 s8, 0x25f8
	s_waitcnt vmcnt(9) lgkmcnt(0)
	v_mul_f64 v[30:31], v[93:94], v[51:52]
	v_mul_f64 v[51:52], v[13:14], v[51:52]
	v_fma_f64 v[30:31], v[13:14], v[49:50], v[30:31]
	v_fma_f64 v[93:94], v[93:94], v[49:50], -v[51:52]
	ds_read2_b64 v[49:52], v36 offset0:12 offset1:255
	s_waitcnt vmcnt(8)
	v_mul_f64 v[99:100], v[95:96], v[55:56]
	v_mul_f64 v[101:102], v[15:16], v[55:56]
	ds_read2_b64 v[55:58], v35 offset0:2 offset1:245
	s_waitcnt vmcnt(7) lgkmcnt(0)
	v_mul_f64 v[103:104], v[55:56], v[67:68]
	v_mul_f64 v[67:68], v[17:18], v[67:68]
	v_fma_f64 v[99:100], v[15:16], v[53:54], v[99:100]
	ds_read2_b64 v[12:15], v37 offset0:4 offset1:247
	v_fma_f64 v[53:54], v[95:96], v[53:54], -v[101:102]
	s_waitcnt vmcnt(6)
	v_mul_f64 v[95:96], v[57:58], v[27:28]
	v_mul_f64 v[27:28], v[19:20], v[27:28]
	v_fma_f64 v[101:102], v[17:18], v[65:66], v[103:104]
	v_fma_f64 v[55:56], v[55:56], v[65:66], -v[67:68]
	s_waitcnt vmcnt(5) lgkmcnt(0)
	v_mul_f64 v[65:66], v[12:13], v[71:72]
	v_mul_f64 v[67:68], v[21:22], v[71:72]
	v_fma_f64 v[95:96], v[19:20], v[25:26], v[95:96]
	v_fma_f64 v[25:26], v[57:58], v[25:26], -v[27:28]
	ds_read2_b64 v[16:19], v38 offset0:8 offset1:251
	v_fma_f64 v[20:21], v[21:22], v[69:70], v[65:66]
	v_fma_f64 v[65:66], v[12:13], v[69:70], -v[67:68]
	ds_read_b64 v[69:70], v32 offset:27216
	s_waitcnt vmcnt(4)
	v_mul_f64 v[57:58], v[23:24], v[75:76]
	v_mul_f64 v[27:28], v[14:15], v[75:76]
	s_waitcnt vmcnt(3) lgkmcnt(1)
	v_mul_f64 v[12:13], v[16:17], v[79:80]
	s_waitcnt vmcnt(2)
	v_mul_f64 v[71:72], v[51:52], v[83:84]
	v_fma_f64 v[57:58], v[14:15], v[73:74], -v[57:58]
	v_fma_f64 v[22:23], v[23:24], v[73:74], v[27:28]
	v_mul_f64 v[27:28], v[45:46], v[79:80]
	v_fma_f64 v[45:46], v[45:46], v[77:78], v[12:13]
	v_add_f64 v[79:80], v[101:102], -v[99:100]
	v_fma_f64 v[67:68], v[2:3], v[81:82], v[71:72]
	v_mul_f64 v[2:3], v[2:3], v[83:84]
	v_add_f64 v[83:84], v[25:26], v[65:66]
	v_fma_f64 v[16:17], v[16:17], v[77:78], -v[27:28]
	v_add_f64 v[77:78], v[101:102], v[99:100]
	s_waitcnt vmcnt(1)
	v_mul_f64 v[14:15], v[18:19], v[87:88]
	v_add_f64 v[71:72], v[67:68], v[30:31]
	v_fma_f64 v[2:3], v[51:52], v[81:82], -v[2:3]
	v_mul_f64 v[51:52], v[47:48], v[87:88]
	v_add_f64 v[87:88], v[95:96], -v[20:21]
	s_waitcnt vmcnt(0)
	v_mul_f64 v[73:74], v[97:98], v[91:92]
	s_waitcnt lgkmcnt(0)
	v_mul_f64 v[27:28], v[69:70], v[91:92]
	v_fma_f64 v[47:48], v[47:48], v[85:86], v[14:15]
	ds_read2_b64 v[12:15], v32 offset1:243
	v_fma_f64 v[71:72], v[71:72], -0.5, v[8:9]
	v_add_f64 v[75:76], v[2:3], -v[93:94]
	v_fma_f64 v[18:19], v[18:19], v[85:86], -v[51:52]
	v_add_f64 v[51:52], v[2:3], v[93:94]
	s_waitcnt lgkmcnt(0)
	v_add_f64 v[2:3], v[12:13], v[2:3]
	v_add_f64 v[8:9], v[8:9], v[67:68]
	v_fma_f64 v[69:70], v[69:70], v[89:90], -v[73:74]
	v_add_f64 v[67:68], v[67:68], -v[30:31]
	v_fma_f64 v[27:28], v[97:98], v[89:90], v[27:28]
	v_fma_f64 v[73:74], v[75:76], s[4:5], v[71:72]
	v_fma_f64 v[12:13], v[51:52], -0.5, v[12:13]
	v_fma_f64 v[51:52], v[75:76], s[6:7], v[71:72]
	v_add_f64 v[71:72], v[55:56], v[53:54]
	v_add_f64 v[75:76], v[2:3], v[93:94]
	;; [unrolled: 1-line block ×4, first 2 shown]
	v_fma_f64 v[10:11], v[77:78], -0.5, v[10:11]
	v_add_f64 v[30:31], v[55:56], -v[53:54]
	v_fma_f64 v[77:78], v[67:68], s[6:7], v[12:13]
	v_fma_f64 v[67:68], v[67:68], s[4:5], v[12:13]
	v_fma_f64 v[12:13], v[71:72], -0.5, v[14:15]
	v_add_f64 v[14:15], v[14:15], v[55:56]
	v_add_f64 v[55:56], v[95:96], v[20:21]
	v_add_f64 v[71:72], v[8:9], v[99:100]
	v_fma_f64 v[81:82], v[30:31], s[4:5], v[10:11]
	v_fma_f64 v[30:31], v[30:31], s[6:7], v[10:11]
	ds_read2_b64 v[8:11], v34 offset0:6 offset1:249
	v_fma_f64 v[85:86], v[79:80], s[6:7], v[12:13]
	v_add_f64 v[53:54], v[14:15], v[53:54]
	v_fma_f64 v[14:15], v[55:56], -0.5, v[4:5]
	v_add_f64 v[55:56], v[25:26], -v[65:66]
	s_waitcnt lgkmcnt(0)
	v_add_f64 v[24:25], v[8:9], v[25:26]
	v_fma_f64 v[8:9], v[83:84], -0.5, v[8:9]
	v_add_f64 v[4:5], v[4:5], v[95:96]
	v_fma_f64 v[79:80], v[79:80], s[4:5], v[12:13]
	v_add_f64 v[12:13], v[45:46], v[22:23]
	s_barrier
	v_fma_f64 v[83:84], v[55:56], s[4:5], v[14:15]
	v_fma_f64 v[14:15], v[55:56], s[6:7], v[14:15]
	v_add_f64 v[55:56], v[24:25], v[65:66]
	v_add_f64 v[24:25], v[16:17], v[57:58]
	v_fma_f64 v[65:66], v[87:88], s[6:7], v[8:9]
	v_fma_f64 v[87:88], v[87:88], s[4:5], v[8:9]
	v_add_f64 v[8:9], v[47:48], v[27:28]
	v_add_f64 v[4:5], v[4:5], v[20:21]
	;; [unrolled: 1-line block ×3, first 2 shown]
	v_fma_f64 v[6:7], v[12:13], -0.5, v[6:7]
	v_add_f64 v[12:13], v[16:17], -v[57:58]
	v_fma_f64 v[24:25], v[24:25], -0.5, v[10:11]
	v_add_f64 v[10:11], v[10:11], v[16:17]
	v_add_f64 v[16:17], v[18:19], v[69:70]
	v_fma_f64 v[8:9], v[8:9], -0.5, v[0:1]
	v_add_f64 v[0:1], v[0:1], v[47:48]
	v_add_f64 v[20:21], v[20:21], v[22:23]
	v_add_f64 v[22:23], v[45:46], -v[22:23]
	v_fma_f64 v[45:46], v[12:13], s[4:5], v[6:7]
	v_fma_f64 v[6:7], v[12:13], s[6:7], v[6:7]
	v_add_f64 v[12:13], v[18:19], -v[69:70]
	v_fma_f64 v[16:17], v[16:17], -0.5, v[49:50]
	v_add_f64 v[18:19], v[49:50], v[18:19]
	v_add_f64 v[47:48], v[47:48], -v[27:28]
	v_add_f64 v[0:1], v[0:1], v[27:28]
	v_add_f64 v[49:50], v[10:11], v[57:58]
	ds_write_b64 v32, v[2:3]
	ds_write_b64 v32, v[73:74] offset:3240
	ds_write_b64 v32, v[51:52] offset:6480
	v_fma_f64 v[10:11], v[12:13], s[4:5], v[8:9]
	v_fma_f64 v[8:9], v[12:13], s[6:7], v[8:9]
	v_mov_b32_e32 v2, 0x25f8
	v_cndmask_b32_e32 v2, 0, v2, vcc
	v_lshlrev_b32_e32 v3, 3, v59
	v_add3_u32 v28, 0, v2, v3
	v_mul_u32_u24_sdwa v2, v105, s8 dst_sel:DWORD dst_unused:UNUSED_PAD src0_sel:BYTE_1 src1_sel:DWORD
	v_lshlrev_b32_e32 v3, 3, v106
	v_lshl_add_u32 v51, v64, 3, 0
	v_add3_u32 v52, 0, v2, v3
	ds_write_b64 v28, v[71:72]
	ds_write_b64 v28, v[81:82] offset:3240
	ds_write_b64 v28, v[30:31] offset:6480
	;; [unrolled: 1-line block ×5, first 2 shown]
	ds_write_b64 v52, v[20:21]
	ds_write_b64 v52, v[45:46] offset:3240
	ds_write_b64 v52, v[6:7] offset:6480
	v_lshl_add_u32 v45, v107, 3, 0
	v_fma_f64 v[57:58], v[22:23], s[6:7], v[24:25]
	v_fma_f64 v[89:90], v[22:23], s[4:5], v[24:25]
	v_add_f64 v[69:70], v[18:19], v[69:70]
	v_fma_f64 v[91:92], v[47:48], s[6:7], v[16:17]
	v_fma_f64 v[47:48], v[47:48], s[4:5], v[16:17]
	ds_write_b64 v45, v[0:1] offset:19440
	ds_write_b64 v45, v[10:11] offset:22680
	;; [unrolled: 1-line block ×3, first 2 shown]
	s_waitcnt lgkmcnt(0)
	s_barrier
	ds_read2_b64 v[0:3], v32 offset1:243
	ds_read2_b64 v[4:7], v36 offset0:12 offset1:255
	ds_read2_b64 v[8:11], v33 offset0:6 offset1:249
	ds_read2_b64 v[16:19], v35 offset0:2 offset1:245
	ds_read2_b64 v[12:15], v34 offset0:6 offset1:249
	ds_read_b64 v[30:31], v32 offset:27216
	ds_read2_b64 v[20:23], v37 offset0:4 offset1:247
	ds_read2_b64 v[24:27], v38 offset0:8 offset1:251
	s_waitcnt lgkmcnt(0)
	s_barrier
	ds_write_b64 v32, v[75:76]
	ds_write_b64 v32, v[77:78] offset:3240
	ds_write_b64 v32, v[67:68] offset:6480
	ds_write_b64 v28, v[53:54]
	ds_write_b64 v28, v[85:86] offset:3240
	ds_write_b64 v28, v[79:80] offset:6480
	ds_write_b64 v51, v[55:56] offset:10368
	ds_write_b64 v51, v[65:66] offset:13608
	ds_write_b64 v51, v[87:88] offset:16848
	ds_write_b64 v52, v[49:50]
	ds_write_b64 v52, v[57:58] offset:3240
	ds_write_b64 v52, v[89:90] offset:6480
	;; [unrolled: 1-line block ×5, first 2 shown]
	s_waitcnt lgkmcnt(0)
	s_barrier
	s_and_saveexec_b64 s[8:9], s[0:1]
	s_cbranch_execz .LBB0_15
; %bb.14:
	v_lshlrev_b32_e32 v28, 1, v42
	v_lshlrev_b64 v[45:46], 4, v[28:29]
	v_mov_b32_e32 v59, s13
	v_add_co_u32_e32 v28, vcc, s12, v45
	v_addc_co_u32_e32 v42, vcc, v59, v46, vcc
	s_movk_i32 s1, 0x4ba0
	v_add_co_u32_e32 v53, vcc, s1, v28
	v_addc_co_u32_e32 v54, vcc, 0, v42, vcc
	s_movk_i32 s0, 0x4000
	v_add_co_u32_e32 v55, vcc, s0, v28
	v_addc_co_u32_e32 v56, vcc, 0, v42, vcc
	global_load_dwordx4 v[45:48], v[55:56], off offset:2976
	global_load_dwordx4 v[49:52], v[53:54], off offset:16
	v_lshlrev_b32_e32 v28, 1, v41
	v_lshlrev_b64 v[41:42], 4, v[28:29]
	v_mul_lo_u32 v103, s3, v62
	v_add_co_u32_e32 v28, vcc, s12, v41
	v_addc_co_u32_e32 v53, vcc, v59, v42, vcc
	v_add_co_u32_e32 v41, vcc, s1, v28
	v_addc_co_u32_e32 v42, vcc, 0, v53, vcc
	;; [unrolled: 2-line block ×3, first 2 shown]
	v_lshlrev_b32_e32 v28, 1, v40
	global_load_dwordx4 v[53:56], v[57:58], off offset:2976
	global_load_dwordx4 v[65:68], v[41:42], off offset:16
	v_lshlrev_b64 v[40:41], 4, v[28:29]
	v_add_co_u32_e32 v28, vcc, s12, v40
	v_addc_co_u32_e32 v42, vcc, v59, v41, vcc
	v_add_co_u32_e32 v40, vcc, s0, v28
	v_addc_co_u32_e32 v41, vcc, 0, v42, vcc
	global_load_dwordx4 v[69:72], v[40:41], off offset:2976
	v_add_co_u32_e32 v40, vcc, s1, v28
	v_addc_co_u32_e32 v41, vcc, 0, v42, vcc
	global_load_dwordx4 v[73:76], v[40:41], off offset:16
	v_lshlrev_b32_e32 v28, 1, v39
	v_lshlrev_b64 v[39:40], 4, v[28:29]
	v_add_co_u32_e32 v28, vcc, s12, v39
	v_addc_co_u32_e32 v58, vcc, v59, v40, vcc
	v_add_co_u32_e32 v39, vcc, s0, v28
	v_addc_co_u32_e32 v40, vcc, 0, v58, vcc
	;; [unrolled: 2-line block ×3, first 2 shown]
	global_load_dwordx4 v[39:42], v[39:40], off offset:2976
	v_add_co_u32_e32 v93, vcc, s1, v43
	global_load_dwordx4 v[77:80], v[57:58], off offset:16
	v_addc_co_u32_e32 v94, vcc, 0, v44, vcc
	v_add_co_u32_e32 v43, vcc, s0, v43
	v_addc_co_u32_e32 v44, vcc, 0, v44, vcc
	ds_read2_b64 v[81:84], v38 offset0:8 offset1:251
	ds_read_b64 v[57:58], v32 offset:27216
	global_load_dwordx4 v[85:88], v[43:44], off offset:2976
	global_load_dwordx4 v[89:92], v[93:94], off offset:16
	ds_read2_b64 v[93:96], v36 offset0:12 offset1:255
	ds_read2_b64 v[97:100], v37 offset0:4 offset1:247
	;; [unrolled: 1-line block ×3, first 2 shown]
	s_mov_b32 s1, 0x1af83441
	v_mul_lo_u32 v28, s2, v63
	v_mad_u64_u32 v[62:63], s[2:3], s2, v62, 0
	v_add3_u32 v63, v63, v28, v103
	s_waitcnt vmcnt(9)
	v_mul_f64 v[43:44], v[26:27], v[47:48]
	s_waitcnt vmcnt(8)
	v_mul_f64 v[101:102], v[30:31], v[51:52]
	s_waitcnt lgkmcnt(4)
	v_mul_f64 v[47:48], v[83:84], v[47:48]
	s_waitcnt lgkmcnt(3)
	v_mul_f64 v[51:52], v[57:58], v[51:52]
	v_fma_f64 v[43:44], v[45:46], v[83:84], -v[43:44]
	v_fma_f64 v[57:58], v[49:50], v[57:58], -v[101:102]
	v_fma_f64 v[83:84], v[26:27], v[45:46], v[47:48]
	v_fma_f64 v[30:31], v[30:31], v[49:50], v[51:52]
	s_waitcnt vmcnt(7)
	v_mul_f64 v[26:27], v[24:25], v[55:56]
	s_waitcnt vmcnt(6)
	v_mul_f64 v[45:46], v[22:23], v[67:68]
	v_mul_f64 v[47:48], v[81:82], v[55:56]
	v_add_f64 v[49:50], v[43:44], v[57:58]
	s_waitcnt lgkmcnt(1)
	v_mul_f64 v[51:52], v[99:100], v[67:68]
	v_add_f64 v[55:56], v[83:84], v[30:31]
	v_fma_f64 v[81:82], v[53:54], v[81:82], -v[26:27]
	v_fma_f64 v[99:100], v[65:66], v[99:100], -v[45:46]
	v_add_f64 v[26:27], v[93:94], v[43:44]
	v_fma_f64 v[49:50], v[49:50], -0.5, v[93:94]
	s_waitcnt vmcnt(5)
	v_mul_f64 v[67:68], v[18:19], v[71:72]
	v_add_f64 v[43:44], v[43:44], -v[57:58]
	v_fma_f64 v[55:56], v[55:56], -0.5, v[4:5]
	v_fma_f64 v[53:54], v[24:25], v[53:54], v[47:48]
	v_fma_f64 v[65:66], v[22:23], v[65:66], v[51:52]
	s_waitcnt vmcnt(4)
	v_mul_f64 v[93:94], v[20:21], v[75:76]
	v_add_f64 v[45:46], v[83:84], -v[30:31]
	v_add_f64 v[51:52], v[81:82], v[99:100]
	v_add_f64 v[22:23], v[26:27], v[57:58]
	;; [unrolled: 1-line block ×3, first 2 shown]
	v_fma_f64 v[24:25], v[43:44], s[6:7], v[55:56]
	v_fma_f64 v[43:44], v[43:44], s[4:5], v[55:56]
	v_add_f64 v[55:56], v[53:54], v[65:66]
	s_waitcnt lgkmcnt(0)
	v_mul_f64 v[57:58], v[37:38], v[71:72]
	v_mul_f64 v[71:72], v[97:98], v[75:76]
	v_fma_f64 v[37:38], v[69:70], v[37:38], -v[67:68]
	v_fma_f64 v[83:84], v[73:74], v[97:98], -v[93:94]
	v_fma_f64 v[26:27], v[45:46], s[4:5], v[49:50]
	v_fma_f64 v[45:46], v[45:46], s[6:7], v[49:50]
	ds_read2_b64 v[47:50], v34 offset0:6 offset1:249
	v_add_f64 v[67:68], v[53:54], -v[65:66]
	v_fma_f64 v[93:94], v[55:56], -0.5, v[14:15]
	v_fma_f64 v[57:58], v[18:19], v[69:70], v[57:58]
	v_fma_f64 v[97:98], v[20:21], v[73:74], v[71:72]
	s_waitcnt lgkmcnt(0)
	v_fma_f64 v[75:76], v[51:52], -0.5, v[49:50]
	v_add_f64 v[49:50], v[49:50], v[81:82]
	v_add_f64 v[18:19], v[81:82], -v[99:100]
	v_add_f64 v[20:21], v[4:5], v[30:31]
	v_add_f64 v[4:5], v[37:38], v[83:84]
	v_add_f64 v[14:15], v[14:15], v[53:54]
	ds_read2_b64 v[69:72], v33 offset0:6 offset1:249
	v_add_f64 v[30:31], v[57:58], v[97:98]
	v_fma_f64 v[51:52], v[67:68], s[4:5], v[75:76]
	v_fma_f64 v[55:56], v[67:68], s[6:7], v[75:76]
	v_add_f64 v[67:68], v[49:50], v[99:100]
	v_fma_f64 v[49:50], v[18:19], s[6:7], v[93:94]
	v_fma_f64 v[53:54], v[18:19], s[4:5], v[93:94]
	v_fma_f64 v[4:5], v[4:5], -0.5, v[47:48]
	v_add_f64 v[18:19], v[57:58], -v[97:98]
	v_add_f64 v[65:66], v[14:15], v[65:66]
	v_add_f64 v[14:15], v[47:48], v[37:38]
	s_waitcnt vmcnt(3)
	v_mul_f64 v[47:48], v[16:17], v[41:42]
	s_waitcnt vmcnt(2)
	v_mul_f64 v[75:76], v[10:11], v[79:80]
	v_fma_f64 v[30:31], v[30:31], -0.5, v[12:13]
	v_add_f64 v[81:82], v[37:38], -v[83:84]
	v_mul_f64 v[33:34], v[35:36], v[41:42]
	v_fma_f64 v[37:38], v[18:19], s[4:5], v[4:5]
	v_fma_f64 v[73:74], v[18:19], s[6:7], v[4:5]
	s_waitcnt lgkmcnt(0)
	v_mul_f64 v[18:19], v[71:72], v[79:80]
	v_fma_f64 v[4:5], v[39:40], v[35:36], -v[47:48]
	v_fma_f64 v[41:42], v[77:78], v[71:72], -v[75:76]
	s_waitcnt vmcnt(1)
	v_mul_f64 v[75:76], v[95:96], v[87:88]
	v_fma_f64 v[35:36], v[81:82], s[6:7], v[30:31]
	v_fma_f64 v[71:72], v[81:82], s[4:5], v[30:31]
	;; [unrolled: 1-line block ×3, first 2 shown]
	s_waitcnt vmcnt(0)
	v_mul_f64 v[39:40], v[8:9], v[91:92]
	v_fma_f64 v[10:11], v[10:11], v[77:78], v[18:19]
	v_mul_f64 v[77:78], v[69:70], v[91:92]
	v_add_f64 v[47:48], v[4:5], v[41:42]
	ds_read2_b64 v[16:19], v32 offset1:243
	v_mul_f64 v[33:34], v[6:7], v[87:88]
	v_fma_f64 v[75:76], v[6:7], v[85:86], v[75:76]
	v_add_f64 v[12:13], v[12:13], v[57:58]
	v_fma_f64 v[39:40], v[89:90], v[69:70], -v[39:40]
	v_add_f64 v[69:70], v[30:31], -v[10:11]
	v_fma_f64 v[79:80], v[8:9], v[89:90], v[77:78]
	s_waitcnt lgkmcnt(0)
	v_fma_f64 v[47:48], v[47:48], -0.5, v[18:19]
	v_add_f64 v[57:58], v[30:31], v[10:11]
	v_fma_f64 v[32:33], v[85:86], v[95:96], -v[33:34]
	v_add_f64 v[6:7], v[18:19], v[4:5]
	v_add_f64 v[81:82], v[4:5], -v[41:42]
	v_add_f64 v[30:31], v[2:3], v[30:31]
	v_add_f64 v[14:15], v[14:15], v[83:84]
	v_add_f64 v[12:13], v[12:13], v[97:98]
	v_fma_f64 v[4:5], v[69:70], s[4:5], v[47:48]
	v_fma_f64 v[8:9], v[69:70], s[6:7], v[47:48]
	v_add_f64 v[47:48], v[75:76], v[79:80]
	v_add_f64 v[77:78], v[32:33], v[39:40]
	v_fma_f64 v[57:58], v[57:58], -0.5, v[2:3]
	v_add_f64 v[18:19], v[6:7], v[41:42]
	v_add_f64 v[69:70], v[75:76], -v[79:80]
	v_fma_f64 v[47:48], v[47:48], -0.5, v[0:1]
	v_add_f64 v[0:1], v[0:1], v[75:76]
	v_fma_f64 v[41:42], v[77:78], -0.5, v[16:17]
	v_add_f64 v[77:78], v[16:17], v[32:33]
	v_add_f64 v[16:17], v[30:31], v[10:11]
	v_mul_hi_u32 v10, v64, s1
	v_fma_f64 v[2:3], v[81:82], s[6:7], v[57:58]
	v_fma_f64 v[6:7], v[81:82], s[4:5], v[57:58]
	v_add_f64 v[57:58], v[32:33], -v[39:40]
	v_add_f64 v[75:76], v[0:1], v[79:80]
	v_lshrrev_b32_e32 v0, 7, v10
	v_mul_u32_u24_e32 v0, 0x4bf, v0
	v_sub_u32_e32 v10, v64, v0
	v_lshlrev_b64 v[0:1], 4, v[62:63]
	v_mov_b32_e32 v11, s11
	v_add_co_u32_e32 v28, vcc, s10, v0
	v_fma_f64 v[32:33], v[69:70], s[4:5], v[41:42]
	v_fma_f64 v[41:42], v[69:70], s[6:7], v[41:42]
	v_add_f64 v[77:78], v[77:78], v[39:40]
	v_fma_f64 v[39:40], v[57:58], s[4:5], v[47:48]
	v_addc_co_u32_e32 v11, vcc, v11, v1, vcc
	v_lshlrev_b64 v[0:1], 4, v[60:61]
	v_fma_f64 v[30:31], v[57:58], s[6:7], v[47:48]
	v_add_co_u32_e32 v34, vcc, v28, v0
	v_addc_co_u32_e32 v47, vcc, v11, v1, vcc
	v_lshlrev_b32_e32 v0, 4, v10
	v_add_co_u32_e32 v0, vcc, v34, v0
	v_addc_co_u32_e32 v1, vcc, 0, v47, vcc
	v_add_co_u32_e32 v10, vcc, s0, v0
	v_addc_co_u32_e32 v11, vcc, 0, v1, vcc
	global_store_dwordx4 v[10:11], v[39:42], off offset:3056
	v_add_u32_e32 v10, 0xf3, v64
	v_mul_hi_u32 v11, v10, s1
	s_mov_b32 s0, 0x9000
	global_store_dwordx4 v[0:1], v[75:78], off
	v_add_co_u32_e32 v0, vcc, s0, v0
	v_addc_co_u32_e32 v1, vcc, 0, v1, vcc
	global_store_dwordx4 v[0:1], v[30:33], off offset:2016
	v_lshrrev_b32_e32 v0, 7, v11
	v_mul_u32_u24_e32 v1, 0x4bf, v0
	v_sub_u32_e32 v1, v10, v1
	s_movk_i32 s0, 0xe3d
	v_mad_u32_u24 v28, v0, s0, v1
	v_lshlrev_b64 v[0:1], 4, v[28:29]
	v_add_co_u32_e32 v0, vcc, v34, v0
	v_addc_co_u32_e32 v1, vcc, v47, v1, vcc
	global_store_dwordx4 v[0:1], v[16:19], off
	v_add_u32_e32 v0, 0x4bf, v28
	v_mov_b32_e32 v1, v29
	v_lshlrev_b64 v[0:1], 4, v[0:1]
	v_add_u32_e32 v28, 0x97e, v28
	v_add_co_u32_e32 v0, vcc, v34, v0
	v_addc_co_u32_e32 v1, vcc, v47, v1, vcc
	global_store_dwordx4 v[0:1], v[6:9], off
	v_lshlrev_b64 v[0:1], 4, v[28:29]
	v_add_u32_e32 v6, 0x1e6, v64
	v_mul_hi_u32 v7, v6, s1
	v_add_co_u32_e32 v0, vcc, v34, v0
	v_addc_co_u32_e32 v1, vcc, v47, v1, vcc
	global_store_dwordx4 v[0:1], v[2:5], off
	v_lshrrev_b32_e32 v0, 7, v7
	v_mul_u32_u24_e32 v1, 0x4bf, v0
	v_sub_u32_e32 v1, v6, v1
	v_mad_u32_u24 v28, v0, s0, v1
	v_lshlrev_b64 v[0:1], 4, v[28:29]
	v_add_u32_e32 v2, 0x2d9, v64
	v_add_co_u32_e32 v0, vcc, v34, v0
	v_addc_co_u32_e32 v1, vcc, v47, v1, vcc
	global_store_dwordx4 v[0:1], v[12:15], off
	v_add_u32_e32 v0, 0x4bf, v28
	v_mov_b32_e32 v1, v29
	v_lshlrev_b64 v[0:1], 4, v[0:1]
	v_add_u32_e32 v28, 0x97e, v28
	v_add_co_u32_e32 v0, vcc, v34, v0
	v_addc_co_u32_e32 v1, vcc, v47, v1, vcc
	global_store_dwordx4 v[0:1], v[71:74], off
	v_lshlrev_b64 v[0:1], 4, v[28:29]
	v_mul_hi_u32 v3, v2, s1
	v_add_co_u32_e32 v0, vcc, v34, v0
	v_addc_co_u32_e32 v1, vcc, v47, v1, vcc
	global_store_dwordx4 v[0:1], v[35:38], off
	v_lshrrev_b32_e32 v0, 7, v3
	v_mul_u32_u24_e32 v1, 0x4bf, v0
	v_sub_u32_e32 v1, v2, v1
	v_mad_u32_u24 v28, v0, s0, v1
	v_lshlrev_b64 v[0:1], 4, v[28:29]
	v_add_u32_e32 v2, 0x3cc, v64
	v_add_co_u32_e32 v0, vcc, v34, v0
	v_addc_co_u32_e32 v1, vcc, v47, v1, vcc
	global_store_dwordx4 v[0:1], v[65:68], off
	v_add_u32_e32 v0, 0x4bf, v28
	v_mov_b32_e32 v1, v29
	v_lshlrev_b64 v[0:1], 4, v[0:1]
	v_add_u32_e32 v28, 0x97e, v28
	v_add_co_u32_e32 v0, vcc, v34, v0
	v_addc_co_u32_e32 v1, vcc, v47, v1, vcc
	global_store_dwordx4 v[0:1], v[53:56], off
	v_lshlrev_b64 v[0:1], 4, v[28:29]
	v_mul_hi_u32 v3, v2, s1
	v_add_co_u32_e32 v0, vcc, v34, v0
	v_addc_co_u32_e32 v1, vcc, v47, v1, vcc
	global_store_dwordx4 v[0:1], v[49:52], off
	v_lshrrev_b32_e32 v0, 7, v3
	v_mul_u32_u24_e32 v1, 0x4bf, v0
	v_sub_u32_e32 v1, v2, v1
	v_mad_u32_u24 v28, v0, s0, v1
	v_lshlrev_b64 v[0:1], 4, v[28:29]
	v_add_co_u32_e32 v0, vcc, v34, v0
	v_addc_co_u32_e32 v1, vcc, v47, v1, vcc
	global_store_dwordx4 v[0:1], v[20:23], off
	v_add_u32_e32 v0, 0x4bf, v28
	v_mov_b32_e32 v1, v29
	v_lshlrev_b64 v[0:1], 4, v[0:1]
	v_add_u32_e32 v28, 0x97e, v28
	v_add_co_u32_e32 v0, vcc, v34, v0
	v_addc_co_u32_e32 v1, vcc, v47, v1, vcc
	global_store_dwordx4 v[0:1], v[43:46], off
	v_lshlrev_b64 v[0:1], 4, v[28:29]
	v_add_co_u32_e32 v0, vcc, v34, v0
	v_addc_co_u32_e32 v1, vcc, v47, v1, vcc
	global_store_dwordx4 v[0:1], v[24:27], off
.LBB0_15:
	s_endpgm
	.section	.rodata,"a",@progbits
	.p2align	6, 0x0
	.amdhsa_kernel fft_rtc_back_len3645_factors_5_3_3_3_3_3_3_wgs_243_tpt_243_halfLds_dp_op_CI_CI_unitstride_sbrr_dirReg
		.amdhsa_group_segment_fixed_size 0
		.amdhsa_private_segment_fixed_size 0
		.amdhsa_kernarg_size 104
		.amdhsa_user_sgpr_count 6
		.amdhsa_user_sgpr_private_segment_buffer 1
		.amdhsa_user_sgpr_dispatch_ptr 0
		.amdhsa_user_sgpr_queue_ptr 0
		.amdhsa_user_sgpr_kernarg_segment_ptr 1
		.amdhsa_user_sgpr_dispatch_id 0
		.amdhsa_user_sgpr_flat_scratch_init 0
		.amdhsa_user_sgpr_private_segment_size 0
		.amdhsa_uses_dynamic_stack 0
		.amdhsa_system_sgpr_private_segment_wavefront_offset 0
		.amdhsa_system_sgpr_workgroup_id_x 1
		.amdhsa_system_sgpr_workgroup_id_y 0
		.amdhsa_system_sgpr_workgroup_id_z 0
		.amdhsa_system_sgpr_workgroup_info 0
		.amdhsa_system_vgpr_workitem_id 0
		.amdhsa_next_free_vgpr 114
		.amdhsa_next_free_sgpr 28
		.amdhsa_reserve_vcc 1
		.amdhsa_reserve_flat_scratch 0
		.amdhsa_float_round_mode_32 0
		.amdhsa_float_round_mode_16_64 0
		.amdhsa_float_denorm_mode_32 3
		.amdhsa_float_denorm_mode_16_64 3
		.amdhsa_dx10_clamp 1
		.amdhsa_ieee_mode 1
		.amdhsa_fp16_overflow 0
		.amdhsa_exception_fp_ieee_invalid_op 0
		.amdhsa_exception_fp_denorm_src 0
		.amdhsa_exception_fp_ieee_div_zero 0
		.amdhsa_exception_fp_ieee_overflow 0
		.amdhsa_exception_fp_ieee_underflow 0
		.amdhsa_exception_fp_ieee_inexact 0
		.amdhsa_exception_int_div_zero 0
	.end_amdhsa_kernel
	.text
.Lfunc_end0:
	.size	fft_rtc_back_len3645_factors_5_3_3_3_3_3_3_wgs_243_tpt_243_halfLds_dp_op_CI_CI_unitstride_sbrr_dirReg, .Lfunc_end0-fft_rtc_back_len3645_factors_5_3_3_3_3_3_3_wgs_243_tpt_243_halfLds_dp_op_CI_CI_unitstride_sbrr_dirReg
                                        ; -- End function
	.section	.AMDGPU.csdata,"",@progbits
; Kernel info:
; codeLenInByte = 13480
; NumSgprs: 32
; NumVgprs: 114
; ScratchSize: 0
; MemoryBound: 1
; FloatMode: 240
; IeeeMode: 1
; LDSByteSize: 0 bytes/workgroup (compile time only)
; SGPRBlocks: 3
; VGPRBlocks: 28
; NumSGPRsForWavesPerEU: 32
; NumVGPRsForWavesPerEU: 114
; Occupancy: 2
; WaveLimiterHint : 1
; COMPUTE_PGM_RSRC2:SCRATCH_EN: 0
; COMPUTE_PGM_RSRC2:USER_SGPR: 6
; COMPUTE_PGM_RSRC2:TRAP_HANDLER: 0
; COMPUTE_PGM_RSRC2:TGID_X_EN: 1
; COMPUTE_PGM_RSRC2:TGID_Y_EN: 0
; COMPUTE_PGM_RSRC2:TGID_Z_EN: 0
; COMPUTE_PGM_RSRC2:TIDIG_COMP_CNT: 0
	.type	__hip_cuid_6dd274d973a2bfa8,@object ; @__hip_cuid_6dd274d973a2bfa8
	.section	.bss,"aw",@nobits
	.globl	__hip_cuid_6dd274d973a2bfa8
__hip_cuid_6dd274d973a2bfa8:
	.byte	0                               ; 0x0
	.size	__hip_cuid_6dd274d973a2bfa8, 1

	.ident	"AMD clang version 19.0.0git (https://github.com/RadeonOpenCompute/llvm-project roc-6.4.0 25133 c7fe45cf4b819c5991fe208aaa96edf142730f1d)"
	.section	".note.GNU-stack","",@progbits
	.addrsig
	.addrsig_sym __hip_cuid_6dd274d973a2bfa8
	.amdgpu_metadata
---
amdhsa.kernels:
  - .args:
      - .actual_access:  read_only
        .address_space:  global
        .offset:         0
        .size:           8
        .value_kind:     global_buffer
      - .offset:         8
        .size:           8
        .value_kind:     by_value
      - .actual_access:  read_only
        .address_space:  global
        .offset:         16
        .size:           8
        .value_kind:     global_buffer
      - .actual_access:  read_only
        .address_space:  global
        .offset:         24
        .size:           8
        .value_kind:     global_buffer
      - .actual_access:  read_only
        .address_space:  global
        .offset:         32
        .size:           8
        .value_kind:     global_buffer
      - .offset:         40
        .size:           8
        .value_kind:     by_value
      - .actual_access:  read_only
        .address_space:  global
        .offset:         48
        .size:           8
        .value_kind:     global_buffer
      - .actual_access:  read_only
        .address_space:  global
        .offset:         56
        .size:           8
        .value_kind:     global_buffer
      - .offset:         64
        .size:           4
        .value_kind:     by_value
      - .actual_access:  read_only
        .address_space:  global
        .offset:         72
        .size:           8
        .value_kind:     global_buffer
      - .actual_access:  read_only
        .address_space:  global
        .offset:         80
        .size:           8
        .value_kind:     global_buffer
      - .actual_access:  read_only
        .address_space:  global
        .offset:         88
        .size:           8
        .value_kind:     global_buffer
      - .actual_access:  write_only
        .address_space:  global
        .offset:         96
        .size:           8
        .value_kind:     global_buffer
    .group_segment_fixed_size: 0
    .kernarg_segment_align: 8
    .kernarg_segment_size: 104
    .language:       OpenCL C
    .language_version:
      - 2
      - 0
    .max_flat_workgroup_size: 243
    .name:           fft_rtc_back_len3645_factors_5_3_3_3_3_3_3_wgs_243_tpt_243_halfLds_dp_op_CI_CI_unitstride_sbrr_dirReg
    .private_segment_fixed_size: 0
    .sgpr_count:     32
    .sgpr_spill_count: 0
    .symbol:         fft_rtc_back_len3645_factors_5_3_3_3_3_3_3_wgs_243_tpt_243_halfLds_dp_op_CI_CI_unitstride_sbrr_dirReg.kd
    .uniform_work_group_size: 1
    .uses_dynamic_stack: false
    .vgpr_count:     114
    .vgpr_spill_count: 0
    .wavefront_size: 64
amdhsa.target:   amdgcn-amd-amdhsa--gfx906
amdhsa.version:
  - 1
  - 2
...

	.end_amdgpu_metadata
